;; amdgpu-corpus repo=ROCm/rocFFT kind=compiled arch=gfx950 opt=O3
	.text
	.amdgcn_target "amdgcn-amd-amdhsa--gfx950"
	.amdhsa_code_object_version 6
	.protected	bluestein_single_fwd_len756_dim1_dp_op_CI_CI ; -- Begin function bluestein_single_fwd_len756_dim1_dp_op_CI_CI
	.globl	bluestein_single_fwd_len756_dim1_dp_op_CI_CI
	.p2align	8
	.type	bluestein_single_fwd_len756_dim1_dp_op_CI_CI,@function
bluestein_single_fwd_len756_dim1_dp_op_CI_CI: ; @bluestein_single_fwd_len756_dim1_dp_op_CI_CI
; %bb.0:
	s_load_dwordx4 s[12:15], s[0:1], 0x28
	v_mul_u32_u24_e32 v1, 0x411, v0
	v_add_u32_sdwa v8, s2, v1 dst_sel:DWORD dst_unused:UNUSED_PAD src0_sel:DWORD src1_sel:WORD_1
	v_mov_b32_e32 v9, 0
	s_waitcnt lgkmcnt(0)
	v_cmp_gt_u64_e32 vcc, s[12:13], v[8:9]
	s_and_saveexec_b64 s[2:3], vcc
	s_cbranch_execz .LBB0_10
; %bb.1:
	s_load_dwordx4 s[4:7], s[0:1], 0x18
	s_load_dwordx4 s[8:11], s[0:1], 0x0
	v_mov_b32_e32 v2, s14
	v_mov_b32_e32 v3, s15
	;; [unrolled: 1-line block ×3, first 2 shown]
	s_waitcnt lgkmcnt(0)
	s_load_dwordx4 s[12:15], s[4:5], 0x0
	v_mul_lo_u16_sdwa v1, v1, v4 dst_sel:DWORD dst_unused:UNUSED_PAD src0_sel:WORD_1 src1_sel:DWORD
	v_sub_u16_e32 v230, v0, v1
	v_mov_b32_e32 v10, 0x17a0
	v_lshlrev_b32_e32 v228, 4, v230
	s_waitcnt lgkmcnt(0)
	v_mad_u64_u32 v[0:1], s[2:3], s14, v8, 0
	v_mov_b32_e32 v4, v1
	v_mad_u64_u32 v[4:5], s[2:3], s15, v8, v[4:5]
	v_mov_b32_e32 v1, v4
	v_mad_u64_u32 v[4:5], s[2:3], s12, v230, 0
	v_mov_b32_e32 v6, v5
	v_mad_u64_u32 v[6:7], s[2:3], s13, v230, v[6:7]
	v_mov_b32_e32 v5, v6
	v_lshl_add_u64 v[0:1], v[0:1], 4, v[2:3]
	v_lshl_add_u64 v[0:1], v[4:5], 4, v[0:1]
	v_mad_u64_u32 v[2:3], s[2:3], s12, v10, v[0:1]
	v_mov_b32_e32 v229, v9
	s_mul_i32 s2, s13, 0x17a0
	v_lshl_add_u64 v[6:7], s[8:9], 0, v[228:229]
	v_add_u32_e32 v3, s2, v3
	s_movk_i32 s3, 0x1000
	global_load_dwordx4 v[48:51], v[0:1], off
	global_load_dwordx4 v[52:55], v[2:3], off
	v_add_co_u32_e32 v0, vcc, s3, v6
	v_mov_b32_e32 v11, 0xffffec50
	s_mul_i32 s3, s13, 0xffffec50
	v_mad_u64_u32 v[2:3], s[4:5], s12, v11, v[2:3]
	s_sub_i32 s3, s3, s12
	v_addc_co_u32_e32 v1, vcc, 0, v7, vcc
	v_add_u32_e32 v3, s3, v3
	global_load_dwordx4 v[24:27], v228, s[8:9]
	global_load_dwordx4 v[16:19], v[0:1], off offset:1952
	global_load_dwordx4 v[56:59], v[2:3], off
	global_load_dwordx4 v[104:107], v228, s[8:9] offset:1008
	v_mad_u64_u32 v[2:3], s[4:5], s12, v10, v[2:3]
	v_add_u32_e32 v3, s2, v3
	v_accvgpr_write_b32 a32, v8
	v_mad_u64_u32 v[8:9], s[4:5], s12, v11, v[2:3]
	v_add_u32_e32 v9, s3, v9
	global_load_dwordx4 v[44:47], v[0:1], off offset:2960
	global_load_dwordx4 v[60:63], v[2:3], off
	s_nop 0
	global_load_dwordx4 v[2:5], v[8:9], off
	global_load_dwordx4 v[32:35], v228, s[8:9] offset:2016
	v_mad_u64_u32 v[8:9], s[4:5], s12, v10, v[8:9]
	v_add_u32_e32 v9, s2, v9
	global_load_dwordx4 v[64:67], v[8:9], off
	global_load_dwordx4 v[20:23], v[0:1], off offset:3968
	v_mad_u64_u32 v[8:9], s[4:5], s12, v11, v[8:9]
	v_add_u32_e32 v9, s3, v9
	global_load_dwordx4 v[68:71], v[8:9], off
	global_load_dwordx4 v[100:103], v228, s[8:9] offset:3024
	v_mad_u64_u32 v[8:9], s[4:5], s12, v10, v[8:9]
	s_movk_i32 s4, 0x2000
	s_nop 0
	v_add_co_u32_e32 v6, vcc, s4, v6
	v_add_u32_e32 v9, s2, v9
	s_nop 0
	v_addc_co_u32_e32 v7, vcc, 0, v7, vcc
	global_load_dwordx4 v[72:75], v[8:9], off
	global_load_dwordx4 v[40:43], v[6:7], off offset:880
	v_mad_u64_u32 v[8:9], s[4:5], s12, v11, v[8:9]
	v_add_u32_e32 v9, s3, v9
	global_load_dwordx4 v[76:79], v[8:9], off
	global_load_dwordx4 v[28:31], v228, s[8:9] offset:4032
	v_mad_u64_u32 v[8:9], s[4:5], s12, v10, v[8:9]
	v_add_u32_e32 v9, s2, v9
	global_load_dwordx4 v[80:83], v[8:9], off
	global_load_dwordx4 v[12:15], v[6:7], off offset:1888
	v_mad_u64_u32 v[8:9], s[4:5], s12, v11, v[8:9]
	v_add_u32_e32 v9, s3, v9
	global_load_dwordx4 v[84:87], v[8:9], off
	global_load_dwordx4 v[96:99], v[0:1], off offset:944
	;; [unrolled: 4-line block ×3, first 2 shown]
	s_mov_b32 s2, 0
	s_load_dwordx4 s[4:7], s[6:7], 0x0
	v_mov_b32_e32 v231, s2
	v_lshl_add_u64 v[238:239], v[230:231], 0, 63
	s_mov_b64 s[2:3], 0x7e
	v_lshlrev_b32_e32 v6, 5, v230
	v_lshl_add_u64 v[140:141], v[230:231], 0, s[2:3]
	s_mov_b64 s[2:3], 0xbd
	v_lshl_add_u64 v[148:149], v[230:231], 0, s[2:3]
	v_accvgpr_write_b32 a33, v6
	s_movk_i32 s2, 0x7c
	s_mov_b32 s13, 0xbfebb67a
	s_movk_i32 s14, 0xab
	v_cmp_gt_u16_e32 vcc, 36, v230
                                        ; implicit-def: $vgpr212_vgpr213
                                        ; implicit-def: $vgpr216_vgpr217
	s_waitcnt vmcnt(21)
	v_mul_f64 v[92:93], v[50:51], v[26:27]
	v_mul_f64 v[0:1], v[48:49], v[26:27]
	v_fmac_f64_e32 v[92:93], v[48:49], v[24:25]
	v_fma_f64 v[94:95], v[50:51], v[24:25], -v[0:1]
	s_waitcnt vmcnt(20)
	v_mul_f64 v[48:49], v[54:55], v[18:19]
	v_mul_f64 v[0:1], v[52:53], v[18:19]
	v_fmac_f64_e32 v[48:49], v[52:53], v[16:17]
	v_fma_f64 v[50:51], v[54:55], v[16:17], -v[0:1]
	ds_write_b128 v228, v[48:51] offset:6048
	s_waitcnt vmcnt(18)
	v_mul_f64 v[48:49], v[58:59], v[106:107]
	v_mul_f64 v[0:1], v[56:57], v[106:107]
	v_fmac_f64_e32 v[48:49], v[56:57], v[104:105]
	v_fma_f64 v[50:51], v[58:59], v[104:105], -v[0:1]
	s_waitcnt vmcnt(16)
	v_mul_f64 v[0:1], v[60:61], v[46:47]
	ds_write_b128 v228, v[48:51] offset:1008
	v_fma_f64 v[50:51], v[62:63], v[44:45], -v[0:1]
	s_waitcnt vmcnt(14)
	v_mul_f64 v[0:1], v[4:5], v[34:35]
	v_fmac_f64_e32 v[0:1], v[2:3], v[32:33]
	v_mul_f64 v[2:3], v[2:3], v[34:35]
	v_fma_f64 v[2:3], v[4:5], v[32:33], -v[2:3]
	ds_write_b128 v228, v[0:3] offset:2016
	s_waitcnt vmcnt(12)
	v_mul_f64 v[0:1], v[66:67], v[22:23]
	v_mul_f64 v[2:3], v[64:65], v[22:23]
	v_fmac_f64_e32 v[0:1], v[64:65], v[20:21]
	v_fma_f64 v[2:3], v[66:67], v[20:21], -v[2:3]
	ds_write_b128 v228, v[0:3] offset:8064
	s_waitcnt vmcnt(10)
	v_mul_f64 v[0:1], v[70:71], v[102:103]
	v_mul_f64 v[2:3], v[68:69], v[102:103]
	v_fmac_f64_e32 v[0:1], v[68:69], v[100:101]
	;; [unrolled: 6-line block ×6, first 2 shown]
	v_fma_f64 v[4:5], v[86:87], v[96:97], -v[4:5]
	v_mul_f64 v[48:49], v[62:63], v[46:47]
	ds_write_b128 v228, v[2:5] offset:5040
	s_waitcnt vmcnt(0)
	v_mul_f64 v[2:3], v[90:91], v[38:39]
	v_mul_f64 v[4:5], v[88:89], v[38:39]
	v_fmac_f64_e32 v[48:49], v[60:61], v[44:45]
	v_fmac_f64_e32 v[2:3], v[88:89], v[36:37]
	v_fma_f64 v[4:5], v[90:91], v[36:37], -v[4:5]
	ds_write_b128 v228, v[92:95]
	ds_write_b128 v228, v[48:51] offset:7056
	ds_write_b128 v228, v[2:5] offset:11088
	s_waitcnt lgkmcnt(0)
	; wave barrier
	s_waitcnt lgkmcnt(0)
	ds_read_b128 v[2:5], v228
	ds_read_b128 v[48:51], v228 offset:1008
	ds_read_b128 v[52:55], v228 offset:6048
	;; [unrolled: 1-line block ×11, first 2 shown]
	s_waitcnt lgkmcnt(9)
	v_add_f64 v[52:53], v[2:3], -v[52:53]
	v_add_f64 v[54:55], v[4:5], -v[54:55]
	v_fma_f64 v[2:3], v[2:3], 2.0, -v[52:53]
	v_fma_f64 v[4:5], v[4:5], 2.0, -v[54:55]
	s_waitcnt lgkmcnt(8)
	v_add_f64 v[56:57], v[48:49], -v[56:57]
	v_add_f64 v[58:59], v[50:51], -v[58:59]
	v_fma_f64 v[48:49], v[48:49], 2.0, -v[56:57]
	v_fma_f64 v[50:51], v[50:51], 2.0, -v[58:59]
	s_waitcnt lgkmcnt(5)
	v_add_f64 v[68:69], v[60:61], -v[68:69]
	v_add_f64 v[70:71], v[62:63], -v[70:71]
	s_waitcnt lgkmcnt(0)
	; wave barrier
	s_waitcnt lgkmcnt(0)
	ds_write_b128 v6, v[2:5]
	ds_write_b128 v6, v[52:55] offset:16
	v_lshlrev_b32_e32 v2, 5, v238
	v_fma_f64 v[60:61], v[60:61], 2.0, -v[68:69]
	v_fma_f64 v[62:63], v[62:63], 2.0, -v[70:71]
	v_add_f64 v[72:73], v[64:65], -v[72:73]
	v_add_f64 v[74:75], v[66:67], -v[74:75]
	ds_write_b128 v2, v[48:51]
	v_accvgpr_write_b32 a38, v2
	ds_write_b128 v2, v[56:59] offset:16
	v_lshlrev_b32_e32 v2, 5, v140
	v_lshlrev_b32_e32 v1, 1, v230
	v_accvgpr_write_b32 a16, v28
	v_fma_f64 v[64:65], v[64:65], 2.0, -v[72:73]
	v_fma_f64 v[66:67], v[66:67], 2.0, -v[74:75]
	v_add_f64 v[84:85], v[76:77], -v[84:85]
	v_add_f64 v[86:87], v[78:79], -v[86:87]
	ds_write_b128 v2, v[60:63]
	v_accvgpr_write_b32 a39, v2
	ds_write_b128 v2, v[68:71] offset:16
	v_lshlrev_b32_e32 v2, 5, v148
	v_accvgpr_write_b32 a17, v29
	v_accvgpr_write_b32 a18, v30
	;; [unrolled: 1-line block ×3, first 2 shown]
	v_add_u32_e32 v0, 0x13b, v230
	v_fma_f64 v[76:77], v[76:77], 2.0, -v[84:85]
	v_fma_f64 v[78:79], v[78:79], 2.0, -v[86:87]
	ds_write_b128 v2, v[64:67]
	v_accvgpr_write_b32 a40, v2
	ds_write_b128 v2, v[72:75] offset:16
	v_add_u32_e32 v30, 0x1f8, v1
	v_lshlrev_b32_e32 v2, 4, v1
	v_add_f64 v[88:89], v[80:81], -v[88:89]
	v_add_f64 v[90:91], v[82:83], -v[90:91]
	v_lshlrev_b32_e32 v3, 4, v30
	ds_write_b128 v2, v[76:79] offset:8064
	v_lshlrev_b32_e32 v2, 5, v0
	v_and_b32_e32 v31, 1, v230
	v_accvgpr_write_b32 a20, v32
	v_fma_f64 v[80:81], v[80:81], 2.0, -v[88:89]
	v_fma_f64 v[82:83], v[82:83], 2.0, -v[90:91]
	ds_write_b128 v3, v[84:87] offset:16
	v_accvgpr_write_b32 a42, v2
	ds_write_b128 v2, v[88:91] offset:16
	v_lshlrev_b32_e32 v2, 4, v31
	v_accvgpr_write_b32 a21, v33
	v_accvgpr_write_b32 a22, v34
	v_accvgpr_write_b32 a23, v35
	ds_write_b128 v6, v[80:83] offset:10080
	s_waitcnt lgkmcnt(0)
	; wave barrier
	s_waitcnt lgkmcnt(0)
	global_load_dwordx4 v[48:51], v2, s[10:11]
	v_and_b32_e32 v33, 1, v0
	v_accvgpr_write_b32 a0, v12
	v_accvgpr_write_b32 a41, v3
	v_and_b32_e32 v32, 1, v238
	v_lshlrev_b32_e32 v3, 4, v33
	v_accvgpr_write_b32 a1, v13
	v_accvgpr_write_b32 a2, v14
	;; [unrolled: 1-line block ×3, first 2 shown]
	v_lshlrev_b32_e32 v2, 4, v32
	global_load_dwordx4 v[52:55], v3, s[10:11]
	global_load_dwordx2 v[14:15], v2, s[10:11]
	v_and_b32_e32 v34, 1, v148
	v_lshlrev_b32_e32 v2, 4, v34
	global_load_dwordx4 v[56:59], v2, s[10:11]
	global_load_dwordx2 v[28:29], v3, s[10:11] offset:8
	ds_read_b128 v[2:5], v228 offset:6048
	ds_read_b128 v[60:63], v228 offset:7056
	;; [unrolled: 1-line block ×6, first 2 shown]
	v_accvgpr_write_b32 a4, v16
	v_accvgpr_write_b32 a5, v17
	;; [unrolled: 1-line block ×12, first 2 shown]
	v_and_or_b32 v1, v1, s2, v31
	v_lshlrev_b32_e32 v1, 4, v1
	ds_read_b128 v[88:91], v228 offset:4032
	ds_read_b128 v[92:95], v228 offset:5040
	v_accvgpr_write_b32 a43, v1
	s_movk_i32 s2, 0xfc
	v_accvgpr_write_b32 a28, v100
	v_accvgpr_write_b32 a24, v96
	v_lshlrev_b32_e32 v0, 1, v0
	v_accvgpr_write_b32 a29, v101
	v_accvgpr_write_b32 a30, v102
	;; [unrolled: 1-line block ×6, first 2 shown]
	v_and_b32_e32 v35, 3, v148
	v_accvgpr_write_b32 a34, v104
	v_accvgpr_write_b32 a35, v105
	;; [unrolled: 1-line block ×4, first 2 shown]
	s_waitcnt vmcnt(4) lgkmcnt(7)
	v_mul_f64 v[6:7], v[4:5], v[50:51]
	v_fma_f64 v[6:7], v[2:3], v[48:49], -v[6:7]
	v_mul_f64 v[8:9], v[2:3], v[50:51]
	v_fmac_f64_e32 v[8:9], v[4:5], v[48:49]
	s_waitcnt lgkmcnt(5)
	v_mul_f64 v[16:17], v[64:65], v[50:51]
	v_fmac_f64_e32 v[16:17], v[66:67], v[48:49]
	s_waitcnt lgkmcnt(3)
	;; [unrolled: 3-line block ×3, first 2 shown]
	v_add_f64 v[98:99], v[90:91], -v[24:25]
	s_waitcnt vmcnt(3)
	v_mul_f64 v[2:3], v[62:63], v[54:55]
	s_waitcnt vmcnt(2)
	v_fma_f64 v[10:11], v[60:61], v[14:15], -v[2:3]
	v_mul_f64 v[12:13], v[60:61], v[54:55]
	v_accvgpr_write_b32 a45, v15
	v_mul_f64 v[2:3], v[66:67], v[50:51]
	v_accvgpr_write_b32 a44, v14
	v_fmac_f64_e32 v[12:13], v[62:63], v[14:15]
	v_fma_f64 v[14:15], v[64:65], v[48:49], -v[2:3]
	s_waitcnt vmcnt(1)
	v_mul_f64 v[2:3], v[70:71], v[58:59]
	v_fma_f64 v[18:19], v[68:69], v[56:57], -v[2:3]
	v_mul_f64 v[2:3], v[74:75], v[50:51]
	v_fma_f64 v[22:23], v[72:73], v[48:49], -v[2:3]
	ds_read_b128 v[2:5], v228
	ds_read_b128 v[60:63], v228 offset:1008
	s_waitcnt vmcnt(0)
	v_accvgpr_write_b32 a47, v29
	v_mul_f64 v[26:27], v[78:79], v[28:29]
	v_accvgpr_write_b32 a46, v28
	s_waitcnt lgkmcnt(1)
	v_add_f64 v[64:65], v[2:3], -v[6:7]
	v_add_f64 v[66:67], v[4:5], -v[8:9]
	v_mul_f64 v[28:29], v[76:77], v[28:29]
	v_fma_f64 v[2:3], v[2:3], 2.0, -v[64:65]
	v_fma_f64 v[4:5], v[4:5], 2.0, -v[66:67]
	ds_read_b128 v[72:75], v228 offset:2016
	v_mul_f64 v[20:21], v[68:69], v[58:59]
	v_fma_f64 v[26:27], v[76:77], v[52:53], -v[26:27]
	v_fmac_f64_e32 v[28:29], v[78:79], v[52:53]
	ds_read_b128 v[76:79], v228 offset:3024
	s_waitcnt lgkmcnt(0)
	; wave barrier
	s_waitcnt lgkmcnt(0)
	ds_write_b128 v1, v[2:5]
	ds_write_b128 v1, v[64:67] offset:32
	v_lshlrev_b32_e32 v1, 1, v238
	v_fmac_f64_e32 v[20:21], v[70:71], v[56:57]
	v_add_f64 v[68:69], v[60:61], -v[10:11]
	v_add_f64 v[70:71], v[62:63], -v[12:13]
	v_and_or_b32 v1, v1, s2, v32
	v_fma_f64 v[60:61], v[60:61], 2.0, -v[68:69]
	v_fma_f64 v[62:63], v[62:63], 2.0, -v[70:71]
	v_lshlrev_b32_e32 v1, 4, v1
	ds_write_b128 v1, v[60:63]
	v_accvgpr_write_b32 a48, v1
	ds_write_b128 v1, v[68:71] offset:32
	v_lshlrev_b32_e32 v1, 1, v140
	s_movk_i32 s2, 0x1fc
	v_add_f64 v[80:81], v[72:73], -v[14:15]
	v_add_f64 v[82:83], v[74:75], -v[16:17]
	v_and_or_b32 v1, v1, s2, v31
	v_fma_f64 v[72:73], v[72:73], 2.0, -v[80:81]
	v_fma_f64 v[74:75], v[74:75], 2.0, -v[82:83]
	v_lshlrev_b32_e32 v2, 1, v148
	v_lshlrev_b32_e32 v1, 4, v1
	v_add_f64 v[84:85], v[76:77], -v[18:19]
	v_add_f64 v[86:87], v[78:79], -v[20:21]
	ds_write_b128 v1, v[72:75]
	v_accvgpr_write_b32 a49, v1
	ds_write_b128 v1, v[80:83] offset:32
	v_and_or_b32 v1, v2, s2, v34
	v_fma_f64 v[76:77], v[76:77], 2.0, -v[84:85]
	v_fma_f64 v[78:79], v[78:79], 2.0, -v[86:87]
	v_lshlrev_b32_e32 v1, 4, v1
	s_movk_i32 s2, 0x3fc
	ds_write_b128 v1, v[76:79]
	v_accvgpr_write_b32 a50, v1
	ds_write_b128 v1, v[84:87] offset:32
	v_and_or_b32 v1, v30, s2, v31
	s_movk_i32 s2, 0x2fc
	v_add_f64 v[96:97], v[88:89], -v[22:23]
	v_add_f64 v[100:101], v[92:93], -v[26:27]
	;; [unrolled: 1-line block ×3, first 2 shown]
	v_and_or_b32 v0, v0, s2, v33
	v_fma_f64 v[88:89], v[88:89], 2.0, -v[96:97]
	v_fma_f64 v[90:91], v[90:91], 2.0, -v[98:99]
	;; [unrolled: 1-line block ×4, first 2 shown]
	v_lshlrev_b32_e32 v1, 4, v1
	v_lshlrev_b32_e32 v0, 4, v0
	v_and_b32_e32 v32, 3, v230
	ds_write_b128 v1, v[88:91]
	ds_write_b128 v1, v[96:99] offset:32
	ds_write_b128 v0, v[92:95]
	v_accvgpr_write_b32 a52, v0
	ds_write_b128 v0, v[100:103] offset:32
	v_lshlrev_b32_e32 v0, 5, v32
	s_waitcnt lgkmcnt(0)
	; wave barrier
	s_waitcnt lgkmcnt(0)
	global_load_dwordx4 v[64:67], v0, s[10:11] offset:32
	global_load_dwordx4 v[60:63], v0, s[10:11] offset:48
	v_and_b32_e32 v33, 3, v238
	v_lshlrev_b32_e32 v0, 5, v33
	global_load_dwordx4 v[68:71], v0, s[10:11] offset:32
	global_load_dwordx4 v[72:75], v0, s[10:11] offset:48
	v_and_b32_e32 v34, 3, v140
	v_lshlrev_b32_e32 v0, 5, v34
	global_load_dwordx4 v[76:79], v0, s[10:11] offset:32
	global_load_dwordx4 v[80:83], v0, s[10:11] offset:48
	v_lshlrev_b32_e32 v0, 5, v35
	global_load_dwordx4 v[84:87], v0, s[10:11] offset:32
	global_load_dwordx4 v[88:91], v0, s[10:11] offset:48
	v_accvgpr_write_b32 a51, v1
	ds_read_b128 v[0:3], v228 offset:4032
	ds_read_b128 v[4:7], v228 offset:5040
	ds_read_b128 v[92:95], v228 offset:8064
	ds_read_b128 v[96:99], v228 offset:9072
	v_lshrrev_b32_e32 v100, 2, v230
	v_mul_u32_u24_e32 v100, 12, v100
	v_or_b32_e32 v32, v100, v32
	v_lshlrev_b32_e32 v32, 4, v32
	s_mov_b32 s2, 0xe8584caa
	s_mov_b32 s3, 0x3febb67a
	;; [unrolled: 1-line block ×3, first 2 shown]
	v_accvgpr_write_b32 a53, v32
	s_waitcnt vmcnt(7) lgkmcnt(3)
	v_mul_f64 v[8:9], v[2:3], v[66:67]
	v_fma_f64 v[8:9], v[0:1], v[64:65], -v[8:9]
	v_mul_f64 v[10:11], v[0:1], v[66:67]
	s_waitcnt vmcnt(6) lgkmcnt(1)
	v_mul_f64 v[0:1], v[94:95], v[62:63]
	v_fma_f64 v[12:13], v[92:93], v[60:61], -v[0:1]
	s_waitcnt vmcnt(5)
	v_mul_f64 v[0:1], v[6:7], v[70:71]
	v_fmac_f64_e32 v[10:11], v[2:3], v[64:65]
	v_mul_f64 v[14:15], v[92:93], v[62:63]
	v_fma_f64 v[16:17], v[4:5], v[68:69], -v[0:1]
	ds_read_b128 v[0:3], v228 offset:6048
	v_fmac_f64_e32 v[14:15], v[94:95], v[60:61]
	v_mul_f64 v[18:19], v[4:5], v[70:71]
	s_waitcnt vmcnt(4) lgkmcnt(1)
	v_mul_f64 v[4:5], v[98:99], v[74:75]
	ds_read_b128 v[92:95], v228 offset:10080
	v_fmac_f64_e32 v[18:19], v[6:7], v[68:69]
	v_fma_f64 v[20:21], v[96:97], v[72:73], -v[4:5]
	ds_read_b128 v[4:7], v228 offset:7056
	v_mul_f64 v[22:23], v[96:97], v[74:75]
	s_waitcnt vmcnt(3) lgkmcnt(2)
	v_mul_f64 v[24:25], v[2:3], v[78:79]
	v_fmac_f64_e32 v[22:23], v[98:99], v[72:73]
	ds_read_b128 v[96:99], v228 offset:11088
	v_fma_f64 v[24:25], v[0:1], v[76:77], -v[24:25]
	v_mul_f64 v[26:27], v[0:1], v[78:79]
	s_waitcnt vmcnt(2) lgkmcnt(2)
	v_mul_f64 v[0:1], v[94:95], v[82:83]
	v_fmac_f64_e32 v[26:27], v[2:3], v[76:77]
	v_fma_f64 v[28:29], v[92:93], v[80:81], -v[0:1]
	s_waitcnt vmcnt(1) lgkmcnt(1)
	v_mul_f64 v[0:1], v[6:7], v[86:87]
	v_mul_f64 v[2:3], v[4:5], v[86:87]
	v_fma_f64 v[0:1], v[4:5], v[84:85], -v[0:1]
	v_fmac_f64_e32 v[2:3], v[6:7], v[84:85]
	ds_read_b128 v[4:7], v228
	v_mul_f64 v[30:31], v[92:93], v[82:83]
	s_waitcnt vmcnt(0) lgkmcnt(1)
	v_mul_f64 v[92:93], v[98:99], v[90:91]
	v_mul_f64 v[110:111], v[96:97], v[90:91]
	v_fmac_f64_e32 v[30:31], v[94:95], v[80:81]
	v_fma_f64 v[108:109], v[96:97], v[88:89], -v[92:93]
	ds_read_b128 v[92:95], v228 offset:1008
	v_fmac_f64_e32 v[110:111], v[98:99], v[88:89]
	s_waitcnt lgkmcnt(1)
	v_add_f64 v[96:97], v[4:5], v[8:9]
	v_add_f64 v[98:99], v[6:7], v[10:11]
	;; [unrolled: 1-line block ×4, first 2 shown]
	v_add_f64 v[112:113], v[10:11], -v[14:15]
	v_add_f64 v[10:11], v[10:11], v[14:15]
	ds_read_b128 v[100:103], v228 offset:2016
	ds_read_b128 v[104:107], v228 offset:3024
	s_waitcnt lgkmcnt(0)
	; wave barrier
	s_waitcnt lgkmcnt(0)
	ds_write_b128 v32, v[96:99]
	v_add_f64 v[96:97], v[8:9], v[12:13]
	v_fmac_f64_e32 v[6:7], -0.5, v[10:11]
	v_add_f64 v[8:9], v[8:9], -v[12:13]
	v_fmac_f64_e32 v[4:5], -0.5, v[96:97]
	v_fma_f64 v[98:99], s[12:13], v[8:9], v[6:7]
	v_fmac_f64_e32 v[6:7], s[2:3], v[8:9]
	v_lshrrev_b32_e32 v8, 2, v238
	v_fma_f64 v[96:97], s[2:3], v[112:113], v[4:5]
	v_fmac_f64_e32 v[4:5], s[12:13], v[112:113]
	v_mul_u32_u24_e32 v8, 12, v8
	ds_write_b128 v32, v[4:7] offset:128
	v_add_f64 v[4:5], v[92:93], v[16:17]
	v_add_f64 v[6:7], v[94:95], v[18:19]
	v_or_b32_e32 v8, v8, v33
	v_add_f64 v[4:5], v[4:5], v[20:21]
	v_add_f64 v[6:7], v[6:7], v[22:23]
	v_lshlrev_b32_e32 v12, 4, v8
	ds_write_b128 v32, v[96:99] offset:64
	ds_write_b128 v12, v[4:7]
	v_add_f64 v[4:5], v[16:17], v[20:21]
	v_fmac_f64_e32 v[92:93], -0.5, v[4:5]
	v_add_f64 v[8:9], v[18:19], -v[22:23]
	v_add_f64 v[4:5], v[18:19], v[22:23]
	v_fmac_f64_e32 v[94:95], -0.5, v[4:5]
	v_add_f64 v[10:11], v[16:17], -v[20:21]
	v_fma_f64 v[4:5], s[2:3], v[8:9], v[92:93]
	v_fmac_f64_e32 v[92:93], s[12:13], v[8:9]
	v_lshrrev_b32_e32 v8, 2, v140
	v_fma_f64 v[6:7], s[12:13], v[10:11], v[94:95]
	v_mul_u32_u24_e32 v8, 12, v8
	ds_write_b128 v12, v[4:7] offset:64
	v_fmac_f64_e32 v[94:95], s[2:3], v[10:11]
	v_add_f64 v[4:5], v[100:101], v[24:25]
	v_add_f64 v[6:7], v[102:103], v[26:27]
	v_or_b32_e32 v8, v8, v34
	v_accvgpr_write_b32 a54, v12
	ds_write_b128 v12, v[92:95] offset:128
	v_add_f64 v[4:5], v[4:5], v[28:29]
	v_add_f64 v[6:7], v[6:7], v[30:31]
	v_lshlrev_b32_e32 v12, 4, v8
	ds_write_b128 v12, v[4:7]
	v_add_f64 v[4:5], v[24:25], v[28:29]
	v_fmac_f64_e32 v[100:101], -0.5, v[4:5]
	v_add_f64 v[8:9], v[26:27], -v[30:31]
	v_add_f64 v[4:5], v[26:27], v[30:31]
	v_fmac_f64_e32 v[102:103], -0.5, v[4:5]
	v_add_f64 v[10:11], v[24:25], -v[28:29]
	v_fma_f64 v[4:5], s[2:3], v[8:9], v[100:101]
	v_fmac_f64_e32 v[100:101], s[12:13], v[8:9]
	v_lshrrev_b32_e32 v8, 2, v148
	v_fma_f64 v[6:7], s[12:13], v[10:11], v[102:103]
	v_mul_u32_u24_e32 v8, 12, v8
	ds_write_b128 v12, v[4:7] offset:64
	v_add_f64 v[4:5], v[104:105], v[0:1]
	v_add_f64 v[6:7], v[106:107], v[2:3]
	v_or_b32_e32 v8, v8, v35
	v_fmac_f64_e32 v[102:103], s[2:3], v[10:11]
	v_add_f64 v[4:5], v[4:5], v[108:109]
	v_add_f64 v[6:7], v[6:7], v[110:111]
	v_lshlrev_b32_e32 v8, 4, v8
	ds_write_b128 v12, v[100:103] offset:128
	ds_write_b128 v8, v[4:7]
	v_add_f64 v[4:5], v[0:1], v[108:109]
	v_fmac_f64_e32 v[104:105], -0.5, v[4:5]
	v_add_f64 v[4:5], v[2:3], -v[110:111]
	v_add_f64 v[2:3], v[2:3], v[110:111]
	v_fmac_f64_e32 v[106:107], -0.5, v[2:3]
	v_add_f64 v[6:7], v[0:1], -v[108:109]
	v_fma_f64 v[0:1], s[2:3], v[4:5], v[104:105]
	v_fma_f64 v[2:3], s[12:13], v[6:7], v[106:107]
	ds_write_b128 v8, v[0:3] offset:64
	v_mul_lo_u16_sdwa v0, v230, s14 dst_sel:DWORD dst_unused:UNUSED_PAD src0_sel:BYTE_0 src1_sel:DWORD
	v_lshrrev_b16_e32 v32, 11, v0
	v_mul_lo_u16_e32 v0, 12, v32
	v_sub_u16_e32 v0, v230, v0
	v_and_b32_e32 v33, 0xff, v0
	v_fmac_f64_e32 v[104:105], s[12:13], v[4:5]
	v_fmac_f64_e32 v[106:107], s[2:3], v[6:7]
	v_lshlrev_b32_e32 v0, 5, v33
	ds_write_b128 v8, v[104:107] offset:128
	s_waitcnt lgkmcnt(0)
	; wave barrier
	s_waitcnt lgkmcnt(0)
	global_load_dwordx4 v[92:95], v0, s[10:11] offset:160
	global_load_dwordx4 v[96:99], v0, s[10:11] offset:176
	v_mul_lo_u16_sdwa v0, v238, s14 dst_sel:DWORD dst_unused:UNUSED_PAD src0_sel:BYTE_0 src1_sel:DWORD
	v_lshrrev_b16_e32 v34, 11, v0
	v_mul_lo_u16_e32 v0, 12, v34
	v_sub_u16_e32 v0, v238, v0
	v_and_b32_e32 v35, 0xff, v0
	v_lshlrev_b32_e32 v0, 5, v35
	global_load_dwordx4 v[100:103], v0, s[10:11] offset:160
	global_load_dwordx4 v[104:107], v0, s[10:11] offset:176
	v_mul_lo_u16_sdwa v0, v140, s14 dst_sel:DWORD dst_unused:UNUSED_PAD src0_sel:BYTE_0 src1_sel:DWORD
	v_lshrrev_b16_e32 v141, 11, v0
	v_mul_lo_u16_e32 v0, 12, v141
	v_sub_u16_e32 v0, v140, v0
	v_and_b32_e32 v149, 0xff, v0
	v_lshlrev_b32_e32 v0, 5, v149
	;; [unrolled: 8-line block ×3, first 2 shown]
	global_load_dwordx4 v[116:119], v0, s[10:11] offset:160
	global_load_dwordx4 v[120:123], v0, s[10:11] offset:176
	ds_read_b128 v[0:3], v228 offset:4032
	ds_read_b128 v[4:7], v228 offset:5040
	v_accvgpr_write_b32 a56, v8
	ds_read_b128 v[124:127], v228 offset:8064
	v_accvgpr_write_b32 a55, v12
	v_mul_lo_u16_e32 v32, 36, v32
	v_and_b32_e32 v32, 0xfc, v32
	v_add_lshl_u32 v32, v32, v33, 4
	s_movk_i32 s14, 0xffdc
	s_mov_b32 s15, -1
	v_accvgpr_write_b32 a57, v32
	s_waitcnt vmcnt(7) lgkmcnt(2)
	v_mul_f64 v[8:9], v[2:3], v[94:95]
	v_mul_f64 v[10:11], v[0:1], v[94:95]
	v_fma_f64 v[8:9], v[0:1], v[92:93], -v[8:9]
	v_fmac_f64_e32 v[10:11], v[2:3], v[92:93]
	ds_read_b128 v[0:3], v228 offset:9072
	s_waitcnt vmcnt(6) lgkmcnt(1)
	v_mul_f64 v[12:13], v[126:127], v[98:99]
	v_mul_f64 v[14:15], v[124:125], v[98:99]
	s_waitcnt vmcnt(5)
	v_mul_f64 v[16:17], v[6:7], v[102:103]
	v_mul_f64 v[18:19], v[4:5], v[102:103]
	v_fma_f64 v[16:17], v[4:5], v[100:101], -v[16:17]
	v_fmac_f64_e32 v[18:19], v[6:7], v[100:101]
	ds_read_b128 v[4:7], v228 offset:6048
	v_fma_f64 v[12:13], v[124:125], v[96:97], -v[12:13]
	v_fmac_f64_e32 v[14:15], v[126:127], v[96:97]
	s_waitcnt vmcnt(4) lgkmcnt(1)
	v_mul_f64 v[20:21], v[2:3], v[106:107]
	v_mul_f64 v[22:23], v[0:1], v[106:107]
	ds_read_b128 v[124:127], v228 offset:10080
	v_fma_f64 v[20:21], v[0:1], v[104:105], -v[20:21]
	v_fmac_f64_e32 v[22:23], v[2:3], v[104:105]
	ds_read_b128 v[0:3], v228 offset:7056
	s_waitcnt vmcnt(3) lgkmcnt(2)
	v_mul_f64 v[24:25], v[6:7], v[110:111]
	v_mul_f64 v[26:27], v[4:5], v[110:111]
	v_fma_f64 v[24:25], v[4:5], v[108:109], -v[24:25]
	v_fmac_f64_e32 v[26:27], v[6:7], v[108:109]
	ds_read_b128 v[4:7], v228 offset:11088
	s_waitcnt vmcnt(2) lgkmcnt(2)
	v_mul_f64 v[28:29], v[126:127], v[114:115]
	v_fma_f64 v[28:29], v[124:125], v[112:113], -v[28:29]
	v_mul_f64 v[30:31], v[124:125], v[114:115]
	s_waitcnt vmcnt(1) lgkmcnt(1)
	v_mul_f64 v[124:125], v[2:3], v[118:119]
	v_mul_f64 v[138:139], v[0:1], v[118:119]
	v_fma_f64 v[136:137], v[0:1], v[116:117], -v[124:125]
	v_fmac_f64_e32 v[138:139], v[2:3], v[116:117]
	ds_read_b128 v[0:3], v228
	s_waitcnt vmcnt(0) lgkmcnt(1)
	v_mul_f64 v[124:125], v[6:7], v[122:123]
	v_mul_f64 v[144:145], v[4:5], v[122:123]
	v_fmac_f64_e32 v[30:31], v[126:127], v[112:113]
	v_fma_f64 v[142:143], v[4:5], v[120:121], -v[124:125]
	v_fmac_f64_e32 v[144:145], v[6:7], v[120:121]
	ds_read_b128 v[4:7], v228 offset:1008
	s_waitcnt lgkmcnt(1)
	v_add_f64 v[124:125], v[0:1], v[8:9]
	v_add_f64 v[126:127], v[2:3], v[10:11]
	;; [unrolled: 1-line block ×4, first 2 shown]
	ds_read_b128 v[128:131], v228 offset:2016
	ds_read_b128 v[132:135], v228 offset:3024
	s_waitcnt lgkmcnt(0)
	; wave barrier
	s_waitcnt lgkmcnt(0)
	ds_write_b128 v32, v[124:127]
	v_add_f64 v[124:125], v[8:9], v[12:13]
	v_add_f64 v[146:147], v[10:11], -v[14:15]
	v_add_f64 v[10:11], v[10:11], v[14:15]
	v_fmac_f64_e32 v[0:1], -0.5, v[124:125]
	v_fmac_f64_e32 v[2:3], -0.5, v[10:11]
	v_add_f64 v[8:9], v[8:9], -v[12:13]
	v_fma_f64 v[124:125], s[2:3], v[146:147], v[0:1]
	v_fma_f64 v[126:127], s[12:13], v[8:9], v[2:3]
	v_fmac_f64_e32 v[0:1], s[12:13], v[146:147]
	v_fmac_f64_e32 v[2:3], s[2:3], v[8:9]
	ds_write_b128 v32, v[0:3] offset:384
	v_add_f64 v[0:1], v[4:5], v[16:17]
	v_add_f64 v[2:3], v[6:7], v[18:19]
	v_mul_u32_u24_e32 v8, 36, v34
	v_add_f64 v[0:1], v[0:1], v[20:21]
	v_add_f64 v[2:3], v[2:3], v[22:23]
	v_add_lshl_u32 v12, v8, v35, 4
	ds_write_b128 v32, v[124:127] offset:192
	ds_write_b128 v12, v[0:3]
	v_add_f64 v[0:1], v[16:17], v[20:21]
	v_fmac_f64_e32 v[4:5], -0.5, v[0:1]
	v_add_f64 v[0:1], v[18:19], v[22:23]
	v_add_f64 v[8:9], v[18:19], -v[22:23]
	v_fmac_f64_e32 v[6:7], -0.5, v[0:1]
	v_add_f64 v[10:11], v[16:17], -v[20:21]
	v_fma_f64 v[0:1], s[2:3], v[8:9], v[4:5]
	v_fma_f64 v[2:3], s[12:13], v[10:11], v[6:7]
	v_fmac_f64_e32 v[4:5], s[12:13], v[8:9]
	v_fmac_f64_e32 v[6:7], s[2:3], v[10:11]
	ds_write_b128 v12, v[0:3] offset:192
	ds_write_b128 v12, v[4:7] offset:384
	v_add_f64 v[0:1], v[128:129], v[24:25]
	v_add_f64 v[2:3], v[130:131], v[26:27]
	v_mul_u32_u24_e32 v4, 36, v141
	v_add_f64 v[0:1], v[0:1], v[28:29]
	v_add_f64 v[2:3], v[2:3], v[30:31]
	v_add_lshl_u32 v8, v4, v149, 4
	ds_write_b128 v8, v[0:3]
	v_add_f64 v[0:1], v[24:25], v[28:29]
	v_fmac_f64_e32 v[128:129], -0.5, v[0:1]
	v_add_f64 v[0:1], v[26:27], v[30:31]
	v_add_f64 v[4:5], v[26:27], -v[30:31]
	v_fmac_f64_e32 v[130:131], -0.5, v[0:1]
	v_add_f64 v[6:7], v[24:25], -v[28:29]
	v_fma_f64 v[0:1], s[2:3], v[4:5], v[128:129]
	v_fma_f64 v[2:3], s[12:13], v[6:7], v[130:131]
	ds_write_b128 v8, v[0:3] offset:192
	v_fmac_f64_e32 v[128:129], s[12:13], v[4:5]
	v_fmac_f64_e32 v[130:131], s[2:3], v[6:7]
	v_add_f64 v[0:1], v[132:133], v[136:137]
	v_add_f64 v[2:3], v[134:135], v[138:139]
	v_mul_u32_u24_e32 v4, 36, v150
	v_accvgpr_write_b32 a59, v8
	ds_write_b128 v8, v[128:131] offset:384
	v_add_f64 v[0:1], v[0:1], v[142:143]
	v_add_f64 v[2:3], v[2:3], v[144:145]
	v_add_lshl_u32 v8, v4, v151, 4
	ds_write_b128 v8, v[0:3]
	v_add_f64 v[0:1], v[136:137], v[142:143]
	v_fmac_f64_e32 v[132:133], -0.5, v[0:1]
	v_add_f64 v[0:1], v[138:139], v[144:145]
	v_add_f64 v[4:5], v[138:139], -v[144:145]
	v_fmac_f64_e32 v[134:135], -0.5, v[0:1]
	v_add_f64 v[6:7], v[136:137], -v[142:143]
	v_fma_f64 v[0:1], s[2:3], v[4:5], v[132:133]
	v_fma_f64 v[2:3], s[12:13], v[6:7], v[134:135]
	ds_write_b128 v8, v[0:3] offset:192
	v_lshl_add_u64 v[0:1], v[230:231], 0, s[14:15]
	v_cndmask_b32_e64 v1, v1, 0, vcc
	v_cndmask_b32_e32 v0, v0, v230, vcc
	v_lshlrev_b64 v[2:3], 5, v[0:1]
	v_fmac_f64_e32 v[132:133], s[12:13], v[4:5]
	v_fmac_f64_e32 v[134:135], s[2:3], v[6:7]
	v_lshl_add_u64 v[2:3], s[10:11], 0, v[2:3]
	v_mov_b32_e32 v1, 57
	ds_write_b128 v8, v[132:135] offset:384
	s_waitcnt lgkmcnt(0)
	; wave barrier
	s_waitcnt lgkmcnt(0)
	global_load_dwordx4 v[124:127], v[2:3], off offset:544
	global_load_dwordx4 v[128:131], v[2:3], off offset:560
	v_mul_lo_u16_sdwa v2, v238, v1 dst_sel:DWORD dst_unused:UNUSED_PAD src0_sel:BYTE_0 src1_sel:DWORD
	v_lshrrev_b16_e32 v32, 11, v2
	v_mul_lo_u16_e32 v2, 36, v32
	v_sub_u16_e32 v2, v238, v2
	v_and_b32_e32 v33, 0xff, v2
	v_lshlrev_b32_e32 v2, 5, v33
	global_load_dwordx4 v[132:135], v2, s[10:11] offset:544
	global_load_dwordx4 v[136:139], v2, s[10:11] offset:560
	v_mul_lo_u16_sdwa v2, v140, v1 dst_sel:DWORD dst_unused:UNUSED_PAD src0_sel:BYTE_0 src1_sel:DWORD
	v_lshrrev_b16_e32 v34, 11, v2
	v_mul_lo_u16_e32 v2, 36, v34
	v_sub_u16_e32 v2, v140, v2
	v_mul_lo_u16_sdwa v1, v148, v1 dst_sel:DWORD dst_unused:UNUSED_PAD src0_sel:BYTE_0 src1_sel:DWORD
	v_and_b32_e32 v35, 0xff, v2
	v_lshrrev_b16_e32 v170, 11, v1
	v_lshlrev_b32_e32 v2, 5, v35
	v_mul_lo_u16_e32 v1, 36, v170
	global_load_dwordx4 v[140:143], v2, s[10:11] offset:544
	global_load_dwordx4 v[144:147], v2, s[10:11] offset:560
	v_sub_u16_e32 v1, v148, v1
	v_and_b32_e32 v171, 0xff, v1
	v_lshlrev_b32_e32 v1, 5, v171
	global_load_dwordx4 v[148:151], v1, s[10:11] offset:544
	global_load_dwordx4 v[152:155], v1, s[10:11] offset:560
	ds_read_b128 v[2:5], v228 offset:4032
	ds_read_b128 v[156:159], v228 offset:5040
	v_accvgpr_write_b32 a60, v8
	ds_read_b128 v[160:163], v228 offset:8064
	v_accvgpr_write_b32 a58, v12
	v_mov_b32_e32 v1, 0x6c
	v_cmp_lt_u16_e32 vcc, 35, v230
	s_waitcnt vmcnt(7) lgkmcnt(2)
	v_mul_f64 v[6:7], v[4:5], v[126:127]
	v_mul_f64 v[8:9], v[2:3], v[126:127]
	v_fma_f64 v[6:7], v[2:3], v[124:125], -v[6:7]
	v_fmac_f64_e32 v[8:9], v[4:5], v[124:125]
	ds_read_b128 v[2:5], v228 offset:9072
	s_waitcnt vmcnt(6) lgkmcnt(1)
	v_mul_f64 v[10:11], v[162:163], v[130:131]
	v_mul_f64 v[12:13], v[160:161], v[130:131]
	s_waitcnt vmcnt(5)
	v_mul_f64 v[14:15], v[158:159], v[134:135]
	v_mul_f64 v[16:17], v[156:157], v[134:135]
	v_fma_f64 v[14:15], v[156:157], v[132:133], -v[14:15]
	v_fmac_f64_e32 v[16:17], v[158:159], v[132:133]
	ds_read_b128 v[156:159], v228 offset:6048
	s_waitcnt vmcnt(4) lgkmcnt(1)
	v_mul_f64 v[18:19], v[4:5], v[138:139]
	v_mul_f64 v[20:21], v[2:3], v[138:139]
	v_fma_f64 v[18:19], v[2:3], v[136:137], -v[18:19]
	v_fmac_f64_e32 v[20:21], v[4:5], v[136:137]
	ds_read_b128 v[2:5], v228 offset:7056
	v_fma_f64 v[10:11], v[160:161], v[128:129], -v[10:11]
	v_fmac_f64_e32 v[12:13], v[162:163], v[128:129]
	s_waitcnt vmcnt(3) lgkmcnt(1)
	v_mul_f64 v[22:23], v[158:159], v[142:143]
	ds_read_b128 v[160:163], v228 offset:10080
	v_mul_f64 v[24:25], v[156:157], v[142:143]
	v_fma_f64 v[22:23], v[156:157], v[140:141], -v[22:23]
	v_fmac_f64_e32 v[24:25], v[158:159], v[140:141]
	ds_read_b128 v[156:159], v228 offset:11088
	s_waitcnt vmcnt(1) lgkmcnt(2)
	v_mul_f64 v[30:31], v[4:5], v[150:151]
	v_mul_f64 v[164:165], v[2:3], v[150:151]
	v_fma_f64 v[30:31], v[2:3], v[148:149], -v[30:31]
	v_fmac_f64_e32 v[164:165], v[4:5], v[148:149]
	ds_read_b128 v[2:5], v228
	s_waitcnt lgkmcnt(2)
	v_mul_f64 v[26:27], v[162:163], v[146:147]
	v_fma_f64 v[26:27], v[160:161], v[144:145], -v[26:27]
	v_mul_f64 v[28:29], v[160:161], v[146:147]
	s_waitcnt vmcnt(0) lgkmcnt(1)
	v_mul_f64 v[160:161], v[158:159], v[154:155]
	v_mul_f64 v[168:169], v[156:157], v[154:155]
	v_fma_f64 v[166:167], v[156:157], v[152:153], -v[160:161]
	v_fmac_f64_e32 v[168:169], v[158:159], v[152:153]
	ds_read_b128 v[156:159], v228 offset:1008
	v_cndmask_b32_e32 v1, 0, v1, vcc
	v_add_lshl_u32 v176, v0, v1, 4
	v_add_f64 v[0:1], v[6:7], v[10:11]
	v_fmac_f64_e32 v[28:29], v[162:163], v[144:145]
	s_waitcnt lgkmcnt(1)
	v_add_f64 v[160:161], v[2:3], v[6:7]
	v_add_f64 v[162:163], v[4:5], v[8:9]
	v_fmac_f64_e32 v[2:3], -0.5, v[0:1]
	v_add_f64 v[0:1], v[8:9], -v[12:13]
	v_add_f64 v[8:9], v[8:9], v[12:13]
	v_add_f64 v[160:161], v[160:161], v[10:11]
	;; [unrolled: 1-line block ×3, first 2 shown]
	v_fmac_f64_e32 v[4:5], -0.5, v[8:9]
	v_add_f64 v[6:7], v[6:7], -v[10:11]
	ds_read_b128 v[172:175], v228 offset:2016
	ds_read_b128 v[196:199], v228 offset:3024
	s_waitcnt lgkmcnt(0)
	; wave barrier
	s_waitcnt lgkmcnt(0)
	ds_write_b128 v176, v[160:163]
	v_fma_f64 v[160:161], s[2:3], v[0:1], v[2:3]
	v_fma_f64 v[162:163], s[12:13], v[6:7], v[4:5]
	v_fmac_f64_e32 v[2:3], s[12:13], v[0:1]
	v_fmac_f64_e32 v[4:5], s[2:3], v[6:7]
	ds_write_b128 v176, v[2:5] offset:1152
	v_add_f64 v[0:1], v[156:157], v[14:15]
	v_add_f64 v[2:3], v[158:159], v[16:17]
	v_mul_u32_u24_e32 v4, 0x6c, v32
	v_add_f64 v[0:1], v[0:1], v[18:19]
	v_add_f64 v[2:3], v[2:3], v[20:21]
	v_add_lshl_u32 v8, v4, v33, 4
	ds_write_b128 v176, v[160:163] offset:576
	ds_write_b128 v8, v[0:3]
	v_add_f64 v[0:1], v[14:15], v[18:19]
	v_fmac_f64_e32 v[156:157], -0.5, v[0:1]
	v_add_f64 v[0:1], v[16:17], v[20:21]
	v_add_f64 v[4:5], v[16:17], -v[20:21]
	v_fmac_f64_e32 v[158:159], -0.5, v[0:1]
	v_add_f64 v[6:7], v[14:15], -v[18:19]
	v_fma_f64 v[0:1], s[2:3], v[4:5], v[156:157]
	v_fma_f64 v[2:3], s[12:13], v[6:7], v[158:159]
	ds_write_b128 v8, v[0:3] offset:576
	v_fmac_f64_e32 v[156:157], s[12:13], v[4:5]
	v_add_f64 v[0:1], v[172:173], v[22:23]
	v_add_f64 v[2:3], v[174:175], v[24:25]
	v_mul_u32_u24_e32 v4, 0x6c, v34
	v_fmac_f64_e32 v[158:159], s[2:3], v[6:7]
	v_add_f64 v[0:1], v[0:1], v[26:27]
	v_add_f64 v[2:3], v[2:3], v[28:29]
	v_add_lshl_u32 v231, v4, v35, 4
	ds_write_b128 v8, v[156:159] offset:1152
	ds_write_b128 v231, v[0:3]
	v_add_f64 v[0:1], v[22:23], v[26:27]
	v_fmac_f64_e32 v[172:173], -0.5, v[0:1]
	v_add_f64 v[0:1], v[24:25], -v[28:29]
	v_fma_f64 v[204:205], s[2:3], v[0:1], v[172:173]
	v_fmac_f64_e32 v[172:173], s[12:13], v[0:1]
	v_add_f64 v[0:1], v[24:25], v[28:29]
	v_fmac_f64_e32 v[174:175], -0.5, v[0:1]
	v_add_f64 v[0:1], v[22:23], -v[26:27]
	v_fma_f64 v[206:207], s[12:13], v[0:1], v[174:175]
	v_fmac_f64_e32 v[174:175], s[2:3], v[0:1]
	v_add_f64 v[0:1], v[196:197], v[30:31]
	v_add_f64 v[220:221], v[0:1], v[166:167]
	;; [unrolled: 1-line block ×6, first 2 shown]
	v_fmac_f64_e32 v[198:199], -0.5, v[0:1]
	v_add_f64 v[0:1], v[30:31], -v[166:167]
	v_fmac_f64_e32 v[196:197], -0.5, v[2:3]
	v_add_f64 v[2:3], v[164:165], -v[168:169]
	v_fma_f64 v[226:227], s[12:13], v[0:1], v[198:199]
	v_fmac_f64_e32 v[198:199], s[2:3], v[0:1]
	v_mul_u32_u24_e32 v0, 0x6c, v170
	v_fma_f64 v[224:225], s[2:3], v[2:3], v[196:197]
	v_fmac_f64_e32 v[196:197], s[12:13], v[2:3]
	v_add_lshl_u32 v229, v0, v171, 4
	ds_write_b128 v231, v[204:207] offset:576
	ds_write_b128 v231, v[172:175] offset:1152
	ds_write_b128 v229, v[220:223]
	ds_write_b128 v229, v[224:227] offset:576
	ds_write_b128 v229, v[196:199] offset:1152
	s_waitcnt lgkmcnt(0)
	; wave barrier
	s_waitcnt lgkmcnt(0)
	ds_read_b128 v[208:211], v228
	ds_read_b128 v[200:203], v228 offset:1728
	ds_read_b128 v[188:191], v228 offset:3456
	;; [unrolled: 1-line block ×6, first 2 shown]
	s_load_dwordx2 s[2:3], s[0:1], 0x38
	v_accvgpr_write_b32 a61, v176
	v_accvgpr_write_b32 a62, v8
	v_cmp_gt_u16_e32 vcc, 45, v230
	s_and_saveexec_b64 s[0:1], vcc
	s_cbranch_execz .LBB0_3
; %bb.2:
	ds_read_b128 v[204:207], v228 offset:1008
	ds_read_b128 v[172:175], v228 offset:2736
	;; [unrolled: 1-line block ×7, first 2 shown]
.LBB0_3:
	s_or_b64 exec, exec, s[0:1]
	s_movk_i32 s0, 0x60
	v_mov_b64_e32 v[0:1], s[10:11]
	v_mad_u64_u32 v[0:1], s[0:1], v230, s0, v[0:1]
	global_load_dwordx4 v[176:179], v[0:1], off offset:1744
	global_load_dwordx4 v[180:183], v[0:1], off offset:1728
	;; [unrolled: 1-line block ×4, first 2 shown]
	v_subrev_u32_e32 v8, 45, v230
	v_cndmask_b32_e32 v8, v8, v238, vcc
	v_mul_hi_i32_i24_e32 v9, 0x60, v8
	v_mul_i32_i24_e32 v8, 0x60, v8
	v_lshl_add_u64 v[8:9], s[10:11], 0, v[8:9]
	s_mov_b32 s16, 0xe976ee23
	s_mov_b32 s14, 0x37e14327
	;; [unrolled: 1-line block ×20, first 2 shown]
	s_waitcnt vmcnt(3) lgkmcnt(0)
	v_mul_f64 v[236:237], v[164:165], v[178:179]
	s_waitcnt vmcnt(2)
	v_mul_f64 v[232:233], v[168:169], v[182:183]
	s_waitcnt vmcnt(1)
	;; [unrolled: 2-line block ×3, first 2 shown]
	v_mul_f64 v[2:3], v[202:203], v[194:195]
	v_fma_f64 v[246:247], v[200:201], v[192:193], -v[2:3]
	v_mul_f64 v[248:249], v[200:201], v[194:195]
	v_mul_f64 v[2:3], v[190:191], v[186:187]
	v_fmac_f64_e32 v[248:249], v[202:203], v[192:193]
	v_fma_f64 v[250:251], v[188:189], v[184:185], -v[2:3]
	v_fmac_f64_e32 v[252:253], v[190:191], v[184:185]
	global_load_dwordx4 v[188:191], v[0:1], off offset:1776
	global_load_dwordx4 v[200:203], v[0:1], off offset:1760
	v_mul_f64 v[2:3], v[170:171], v[182:183]
	v_fma_f64 v[254:255], v[168:169], v[180:181], -v[2:3]
	v_mul_f64 v[2:3], v[166:167], v[178:179]
	v_fma_f64 v[234:235], v[164:165], v[176:177], -v[2:3]
	v_fmac_f64_e32 v[232:233], v[170:171], v[180:181]
	v_fmac_f64_e32 v[236:237], v[166:167], v[176:177]
	v_add_f64 v[16:17], v[254:255], v[234:235]
	v_add_f64 v[18:19], v[232:233], v[236:237]
	v_add_f64 v[20:21], v[234:235], -v[254:255]
	v_add_f64 v[22:23], v[236:237], -v[232:233]
	s_waitcnt vmcnt(1)
	v_mul_f64 v[4:5], v[158:159], v[190:191]
	s_waitcnt vmcnt(0)
	v_mul_f64 v[0:1], v[162:163], v[202:203]
	v_mul_f64 v[2:3], v[160:161], v[202:203]
	;; [unrolled: 1-line block ×3, first 2 shown]
	v_fma_f64 v[0:1], v[160:161], v[200:201], -v[0:1]
	v_fmac_f64_e32 v[2:3], v[162:163], v[200:201]
	v_fma_f64 v[4:5], v[156:157], v[188:189], -v[4:5]
	v_fmac_f64_e32 v[6:7], v[158:159], v[188:189]
	global_load_dwordx4 v[156:159], v[8:9], off offset:1744
	global_load_dwordx4 v[160:163], v[8:9], off offset:1728
	;; [unrolled: 1-line block ×4, first 2 shown]
	v_add_f64 v[12:13], v[250:251], v[0:1]
	v_add_f64 v[14:15], v[252:253], v[2:3]
	v_add_f64 v[0:1], v[250:251], -v[0:1]
	v_add_f64 v[2:3], v[252:253], -v[2:3]
	;; [unrolled: 1-line block ×4, first 2 shown]
	s_waitcnt vmcnt(3)
	v_mul_f64 v[244:245], v[196:197], v[158:159]
	v_fmac_f64_e32 v[244:245], v[198:199], v[156:157]
	s_waitcnt vmcnt(0)
	v_mul_f64 v[10:11], v[174:175], v[170:171]
	v_fma_f64 v[238:239], v[172:173], v[168:169], -v[10:11]
	v_mul_f64 v[10:11], v[222:223], v[166:167]
	v_fma_f64 v[242:243], v[220:221], v[164:165], -v[10:11]
	v_mul_f64 v[220:221], v[220:221], v[166:167]
	v_mul_f64 v[10:11], v[226:227], v[162:163]
	;; [unrolled: 1-line block ×3, first 2 shown]
	v_fmac_f64_e32 v[220:221], v[222:223], v[164:165]
	v_fma_f64 v[222:223], v[224:225], v[160:161], -v[10:11]
	v_mul_f64 v[224:225], v[224:225], v[162:163]
	v_mul_f64 v[10:11], v[198:199], v[158:159]
	v_fmac_f64_e32 v[240:241], v[174:175], v[168:169]
	v_fmac_f64_e32 v[224:225], v[226:227], v[160:161]
	v_fma_f64 v[226:227], v[196:197], v[156:157], -v[10:11]
	global_load_dwordx4 v[172:175], v[8:9], off offset:1776
	global_load_dwordx4 v[196:199], v[8:9], off offset:1760
	v_add_f64 v[10:11], v[248:249], v[6:7]
	v_add_f64 v[26:27], v[14:15], v[10:11]
	v_add_f64 v[6:7], v[248:249], -v[6:7]
	v_add_f64 v[30:31], v[14:15], -v[10:11]
	;; [unrolled: 1-line block ×4, first 2 shown]
	v_add_f64 v[18:19], v[18:19], v[26:27]
	v_add_f64 v[254:255], v[210:211], v[18:19]
	v_mul_f64 v[10:11], v[10:11], s[14:15]
	v_mul_f64 v[26:27], v[14:15], s[0:1]
	;; [unrolled: 1-line block ×3, first 2 shown]
	s_waitcnt vmcnt(0)
	v_mul_f64 v[8:9], v[214:215], v[198:199]
	v_fma_f64 v[32:33], v[212:213], v[196:197], -v[8:9]
	v_mul_f64 v[8:9], v[218:219], v[174:175]
	v_mul_f64 v[34:35], v[212:213], v[198:199]
	v_fma_f64 v[212:213], v[216:217], v[172:173], -v[8:9]
	v_add_f64 v[8:9], v[246:247], v[4:5]
	v_add_f64 v[24:25], v[12:13], v[8:9]
	v_add_f64 v[28:29], v[12:13], -v[8:9]
	v_add_f64 v[8:9], v[8:9], -v[16:17]
	v_add_f64 v[12:13], v[16:17], -v[12:13]
	v_add_f64 v[16:17], v[16:17], v[24:25]
	v_fmac_f64_e32 v[34:35], v[214:215], v[196:197]
	v_mul_f64 v[214:215], v[216:217], v[174:175]
	v_add_f64 v[4:5], v[246:247], -v[4:5]
	v_add_f64 v[252:253], v[208:209], v[16:17]
	v_fmac_f64_e32 v[214:215], v[218:219], v[172:173]
	v_add_f64 v[216:217], v[20:21], v[0:1]
	v_add_f64 v[218:219], v[22:23], v[2:3]
	v_add_f64 v[0:1], v[0:1], -v[4:5]
	v_add_f64 v[2:3], v[2:3], -v[6:7]
	v_mul_f64 v[208:209], v[232:233], s[16:17]
	v_mov_b64_e32 v[232:233], v[252:253]
	v_add_f64 v[20:21], v[4:5], -v[20:21]
	v_add_f64 v[22:23], v[6:7], -v[22:23]
	v_add_f64 v[4:5], v[216:217], v[4:5]
	v_add_f64 v[6:7], v[218:219], v[6:7]
	v_mul_f64 v[8:9], v[8:9], s[14:15]
	v_mul_f64 v[24:25], v[12:13], s[0:1]
	;; [unrolled: 1-line block ×4, first 2 shown]
	v_fmac_f64_e32 v[232:233], s[20:21], v[16:17]
	v_mov_b64_e32 v[16:17], v[254:255]
	v_fmac_f64_e32 v[16:17], s[20:21], v[18:19]
	v_fma_f64 v[18:19], v[28:29], s[10:11], -v[24:25]
	v_fma_f64 v[24:25], v[30:31], s[10:11], -v[26:27]
	;; [unrolled: 1-line block ×3, first 2 shown]
	v_fmac_f64_e32 v[8:9], s[0:1], v[12:13]
	v_fma_f64 v[12:13], v[30:31], s[22:23], -v[10:11]
	v_fmac_f64_e32 v[10:11], s[0:1], v[14:15]
	v_fma_f64 v[0:1], v[0:1], s[18:19], -v[208:209]
	v_fmac_f64_e32 v[208:209], s[24:25], v[20:21]
	v_fma_f64 v[2:3], v[2:3], s[18:19], -v[210:211]
	v_fmac_f64_e32 v[210:211], s[24:25], v[22:23]
	v_fma_f64 v[28:29], v[20:21], s[26:27], -v[216:217]
	v_fma_f64 v[30:31], v[22:23], s[26:27], -v[218:219]
	v_add_f64 v[216:217], v[8:9], v[232:233]
	v_add_f64 v[218:219], v[10:11], v[16:17]
	;; [unrolled: 1-line block ×5, first 2 shown]
	v_fmac_f64_e32 v[208:209], s[12:13], v[4:5]
	v_fmac_f64_e32 v[210:211], s[12:13], v[6:7]
	;; [unrolled: 1-line block ×6, first 2 shown]
	v_add_f64 v[8:9], v[210:211], v[216:217]
	v_add_f64 v[10:11], v[218:219], -v[208:209]
	v_add_f64 v[12:13], v[30:31], v[24:25]
	v_add_f64 v[14:15], v[26:27], -v[28:29]
	v_add_f64 v[24:25], v[24:25], -v[30:31]
	v_add_f64 v[26:27], v[28:29], v[26:27]
	v_add_f64 v[28:29], v[216:217], -v[210:211]
	v_add_f64 v[30:31], v[208:209], v[218:219]
	v_add_f64 v[4:5], v[238:239], v[212:213]
	v_add_f64 v[6:7], v[240:241], v[214:215]
	v_add_f64 v[208:209], v[238:239], -v[212:213]
	v_add_f64 v[210:211], v[240:241], -v[214:215]
	v_add_f64 v[212:213], v[242:243], v[32:33]
	v_add_f64 v[214:215], v[220:221], v[34:35]
	;; [unrolled: 1-line block ×3, first 2 shown]
	v_add_f64 v[32:33], v[242:243], -v[32:33]
	v_add_f64 v[34:35], v[220:221], -v[34:35]
	v_add_f64 v[216:217], v[222:223], v[226:227]
	v_add_f64 v[232:233], v[224:225], v[244:245]
	v_add_f64 v[222:223], v[226:227], -v[222:223]
	v_add_f64 v[224:225], v[244:245], -v[224:225]
	v_add_f64 v[226:227], v[212:213], v[4:5]
	v_add_f64 v[234:235], v[214:215], v[6:7]
	v_add_f64 v[16:17], v[20:21], -v[2:3]
	v_add_f64 v[18:19], v[0:1], v[22:23]
	v_add_f64 v[20:21], v[2:3], v[20:21]
	v_add_f64 v[22:23], v[22:23], -v[0:1]
	v_add_f64 v[0:1], v[212:213], -v[4:5]
	;; [unrolled: 1-line block ×7, first 2 shown]
	v_add_f64 v[212:213], v[222:223], v[32:33]
	v_add_f64 v[214:215], v[224:225], v[34:35]
	v_add_f64 v[236:237], v[222:223], -v[32:33]
	v_add_f64 v[238:239], v[224:225], -v[34:35]
	;; [unrolled: 1-line block ×4, first 2 shown]
	v_add_f64 v[216:217], v[216:217], v[226:227]
	v_add_f64 v[226:227], v[232:233], v[234:235]
	v_add_f64 v[222:223], v[208:209], -v[222:223]
	v_add_f64 v[246:247], v[210:211], -v[224:225]
	v_add_f64 v[240:241], v[212:213], v[208:209]
	v_add_f64 v[242:243], v[214:215], v[210:211]
	;; [unrolled: 1-line block ×4, first 2 shown]
	v_mul_f64 v[204:205], v[4:5], s[14:15]
	v_mul_f64 v[206:207], v[6:7], s[14:15]
	;; [unrolled: 1-line block ×6, first 2 shown]
	v_fma_f64 v[238:239], s[20:21], v[216:217], v[212:213]
	v_fma_f64 v[250:251], s[20:21], v[226:227], v[214:215]
	v_fma_f64 v[32:33], v[0:1], s[22:23], -v[204:205]
	v_fmac_f64_e32 v[204:205], s[0:1], v[218:219]
	v_fma_f64 v[34:35], v[2:3], s[22:23], -v[206:207]
	v_fmac_f64_e32 v[206:207], s[0:1], v[220:221]
	v_fma_f64 v[6:7], s[24:25], v[222:223], v[244:245]
	v_fma_f64 v[4:5], s[24:25], v[246:247], v[224:225]
	v_fma_f64 v[234:235], v[222:223], s[26:27], -v[248:249]
	v_fma_f64 v[226:227], v[246:247], s[26:27], -v[232:233]
	v_add_f64 v[216:217], v[204:205], v[238:239]
	v_add_f64 v[222:223], v[206:207], v[250:251]
	;; [unrolled: 1-line block ×4, first 2 shown]
	v_fmac_f64_e32 v[6:7], s[12:13], v[240:241]
	v_fmac_f64_e32 v[4:5], s[12:13], v[242:243]
	;; [unrolled: 1-line block ×4, first 2 shown]
	v_add_f64 v[204:205], v[236:237], -v[226:227]
	v_add_f64 v[206:207], v[234:235], v[246:247]
	v_add_f64 v[208:209], v[216:217], -v[4:5]
	v_add_f64 v[210:211], v[6:7], v[222:223]
	ds_write_b128 v228, v[252:255]
	ds_write_b128 v228, v[8:11] offset:1728
	ds_write_b128 v228, v[12:15] offset:3456
	;; [unrolled: 1-line block ×6, first 2 shown]
	s_and_saveexec_b64 s[14:15], vcc
	s_cbranch_execz .LBB0_5
; %bb.4:
	v_mul_f64 v[8:9], v[218:219], s[0:1]
	v_mul_f64 v[10:11], v[220:221], s[0:1]
	;; [unrolled: 1-line block ×4, first 2 shown]
	v_add_f64 v[2:3], v[2:3], -v[10:11]
	v_add_f64 v[0:1], v[0:1], -v[8:9]
	v_mul_f64 v[12:13], v[240:241], s[12:13]
	v_mul_f64 v[14:15], v[242:243], s[12:13]
	v_add_f64 v[10:11], v[2:3], v[250:251]
	v_add_f64 v[2:3], v[248:249], -v[244:245]
	v_add_f64 v[8:9], v[0:1], v[238:239]
	v_add_f64 v[0:1], v[232:233], -v[224:225]
	v_add_f64 v[12:13], v[12:13], v[2:3]
	v_add_f64 v[14:15], v[14:15], v[0:1]
	v_add_f64 v[2:3], v[10:11], -v[12:13]
	v_add_f64 v[0:1], v[14:15], v[8:9]
	v_add_f64 v[10:11], v[12:13], v[10:11]
	v_add_f64 v[8:9], v[8:9], -v[14:15]
	v_add_f64 v[14:15], v[246:247], -v[234:235]
	v_add_f64 v[12:13], v[226:227], v[236:237]
	v_add_f64 v[6:7], v[222:223], -v[6:7]
	v_add_f64 v[4:5], v[4:5], v[216:217]
	ds_write_b128 v228, v[212:215] offset:1008
	ds_write_b128 v228, v[4:7] offset:2736
	;; [unrolled: 1-line block ×7, first 2 shown]
.LBB0_5:
	s_or_b64 exec, exec, s[14:15]
	v_lshlrev_b32_e32 v0, 4, v230
	v_mov_b32_e32 v1, 0
	v_lshl_add_u64 v[216:217], s[8:9], 0, v[0:1]
	s_mov_b64 s[0:1], 0x2f40
	v_lshl_add_u64 v[214:215], v[216:217], 0, s[0:1]
	s_movk_i32 s0, 0x2000
	v_add_co_u32_e64 v4, s[0:1], s0, v216
	s_waitcnt lgkmcnt(0)
	s_nop 0
	v_addc_co_u32_e64 v5, s[0:1], 0, v217, s[0:1]
	; wave barrier
	global_load_dwordx4 v[4:7], v[4:5], off offset:3904
	ds_read_b128 v[0:3], v228
	s_movk_i32 s0, 0x4000
	v_add_co_u32_e64 v212, s[0:1], s0, v216
	v_accvgpr_read_b32 v32, a33
	s_nop 0
	v_addc_co_u32_e64 v213, s[0:1], 0, v217, s[0:1]
	s_movk_i32 s0, 0x5000
	s_nop 0
	v_add_co_u32_e64 v12, s[0:1], s0, v216
	v_accvgpr_read_b32 v233, a45
	s_nop 0
	v_addc_co_u32_e64 v13, s[0:1], 0, v217, s[0:1]
	v_accvgpr_read_b32 v232, a44
	s_mov_b32 s0, 0xe8584caa
	s_mov_b32 s1, 0xbfebb67a
	;; [unrolled: 1-line block ×4, first 2 shown]
	s_waitcnt vmcnt(0) lgkmcnt(0)
	v_mul_f64 v[8:9], v[2:3], v[6:7]
	v_mul_f64 v[10:11], v[0:1], v[6:7]
	v_fma_f64 v[8:9], v[0:1], v[4:5], -v[8:9]
	v_fmac_f64_e32 v[10:11], v[2:3], v[4:5]
	global_load_dwordx4 v[4:7], v[212:213], off offset:1760
	ds_read_b128 v[0:3], v228 offset:6048
	ds_write_b128 v228, v[8:11]
	s_waitcnt vmcnt(0) lgkmcnt(1)
	v_mul_f64 v[8:9], v[2:3], v[6:7]
	v_mul_f64 v[10:11], v[0:1], v[6:7]
	v_fma_f64 v[8:9], v[0:1], v[4:5], -v[8:9]
	v_fmac_f64_e32 v[10:11], v[2:3], v[4:5]
	global_load_dwordx4 v[4:7], v[214:215], off offset:1008
	ds_read_b128 v[0:3], v228 offset:1008
	ds_write_b128 v228, v[8:11] offset:6048
	s_waitcnt vmcnt(0) lgkmcnt(1)
	v_mul_f64 v[8:9], v[2:3], v[6:7]
	v_mul_f64 v[10:11], v[0:1], v[6:7]
	v_fma_f64 v[8:9], v[0:1], v[4:5], -v[8:9]
	v_fmac_f64_e32 v[10:11], v[2:3], v[4:5]
	global_load_dwordx4 v[4:7], v[212:213], off offset:2768
	ds_read_b128 v[0:3], v228 offset:7056
	ds_write_b128 v228, v[8:11] offset:1008
	;; [unrolled: 8-line block ×8, first 2 shown]
	s_waitcnt vmcnt(0) lgkmcnt(1)
	v_mul_f64 v[8:9], v[2:3], v[6:7]
	v_mul_f64 v[10:11], v[0:1], v[6:7]
	v_fma_f64 v[8:9], v[0:1], v[4:5], -v[8:9]
	v_fmac_f64_e32 v[10:11], v[2:3], v[4:5]
	global_load_dwordx4 v[4:7], v[212:213], off offset:752
	ds_read_b128 v[0:3], v228 offset:5040
	ds_read_b128 v[212:215], v228 offset:11088
	ds_write_b128 v228, v[8:11] offset:10080
	s_waitcnt vmcnt(0) lgkmcnt(2)
	v_mul_f64 v[8:9], v[2:3], v[6:7]
	v_mul_f64 v[10:11], v[0:1], v[6:7]
	v_fma_f64 v[8:9], v[0:1], v[4:5], -v[8:9]
	v_fmac_f64_e32 v[10:11], v[2:3], v[4:5]
	global_load_dwordx4 v[0:3], v[12:13], off offset:2704
	ds_write_b128 v228, v[8:11] offset:5040
	s_waitcnt vmcnt(0) lgkmcnt(2)
	v_mul_f64 v[4:5], v[214:215], v[2:3]
	v_mul_f64 v[6:7], v[212:213], v[2:3]
	v_fma_f64 v[4:5], v[212:213], v[0:1], -v[4:5]
	v_fmac_f64_e32 v[6:7], v[214:215], v[0:1]
	ds_write_b128 v228, v[4:7] offset:11088
	s_waitcnt lgkmcnt(0)
	; wave barrier
	s_waitcnt lgkmcnt(0)
	ds_read_b128 v[0:3], v228
	ds_read_b128 v[4:7], v228 offset:6048
	ds_read_b128 v[8:11], v228 offset:1008
	;; [unrolled: 1-line block ×11, first 2 shown]
	s_waitcnt lgkmcnt(10)
	v_add_f64 v[4:5], v[0:1], -v[4:5]
	v_add_f64 v[6:7], v[2:3], -v[6:7]
	v_fma_f64 v[0:1], v[0:1], 2.0, -v[4:5]
	v_fma_f64 v[2:3], v[2:3], 2.0, -v[6:7]
	s_waitcnt lgkmcnt(8)
	v_add_f64 v[12:13], v[8:9], -v[12:13]
	v_add_f64 v[14:15], v[10:11], -v[14:15]
	v_fma_f64 v[8:9], v[8:9], 2.0, -v[12:13]
	v_fma_f64 v[10:11], v[10:11], 2.0, -v[14:15]
	s_waitcnt lgkmcnt(6)
	v_add_f64 v[20:21], v[16:17], -v[20:21]
	v_add_f64 v[22:23], v[18:19], -v[22:23]
	s_waitcnt lgkmcnt(0)
	; wave barrier
	s_waitcnt lgkmcnt(0)
	ds_write_b128 v32, v[0:3]
	ds_write_b128 v32, v[4:7] offset:16
	v_accvgpr_read_b32 v0, a38
	v_fma_f64 v[16:17], v[16:17], 2.0, -v[20:21]
	v_fma_f64 v[18:19], v[18:19], 2.0, -v[22:23]
	v_add_f64 v[28:29], v[24:25], -v[28:29]
	v_add_f64 v[30:31], v[26:27], -v[30:31]
	ds_write_b128 v0, v[8:11]
	ds_write_b128 v0, v[12:15] offset:16
	v_accvgpr_read_b32 v0, a39
	v_fma_f64 v[24:25], v[24:25], 2.0, -v[28:29]
	v_fma_f64 v[26:27], v[26:27], 2.0, -v[30:31]
	v_add_f64 v[216:217], v[212:213], -v[216:217]
	v_add_f64 v[218:219], v[214:215], -v[218:219]
	;; [unrolled: 7-line block ×3, first 2 shown]
	ds_write_b128 v0, v[24:27]
	ds_write_b128 v0, v[28:31] offset:16
	v_accvgpr_read_b32 v0, a41
	v_fma_f64 v[220:221], v[220:221], 2.0, -v[224:225]
	v_fma_f64 v[222:223], v[222:223], 2.0, -v[226:227]
	ds_write_b128 v0, v[212:215]
	ds_write_b128 v0, v[216:219] offset:16
	v_accvgpr_read_b32 v0, a42
	ds_write_b128 v0, v[220:223]
	ds_write_b128 v0, v[224:227] offset:16
	s_waitcnt lgkmcnt(0)
	; wave barrier
	s_waitcnt lgkmcnt(0)
	ds_read_b128 v[0:3], v228
	ds_read_b128 v[4:7], v228 offset:6048
	ds_read_b128 v[8:11], v228 offset:1008
	ds_read_b128 v[12:15], v228 offset:7056
	ds_read_b128 v[16:19], v228 offset:2016
	ds_read_b128 v[20:23], v228 offset:8064
	ds_read_b128 v[24:27], v228 offset:3024
	ds_read_b128 v[28:31], v228 offset:9072
	ds_read_b128 v[212:215], v228 offset:4032
	ds_read_b128 v[216:219], v228 offset:10080
	ds_read_b128 v[220:223], v228 offset:5040
	ds_read_b128 v[224:227], v228 offset:11088
	s_waitcnt lgkmcnt(10)
	v_mul_f64 v[32:33], v[50:51], v[6:7]
	v_fmac_f64_e32 v[32:33], v[48:49], v[4:5]
	v_mul_f64 v[4:5], v[50:51], v[4:5]
	v_fma_f64 v[6:7], v[48:49], v[6:7], -v[4:5]
	s_waitcnt lgkmcnt(8)
	v_mul_f64 v[4:5], v[54:55], v[12:13]
	v_mul_f64 v[34:35], v[54:55], v[14:15]
	v_fma_f64 v[14:15], v[232:233], v[14:15], -v[4:5]
	s_waitcnt lgkmcnt(6)
	v_mul_f64 v[4:5], v[50:51], v[20:21]
	;; [unrolled: 4-line block ×3, first 2 shown]
	v_fmac_f64_e32 v[34:35], v[232:233], v[12:13]
	v_mul_f64 v[232:233], v[58:59], v[30:31]
	v_fma_f64 v[30:31], v[56:57], v[30:31], -v[4:5]
	s_waitcnt lgkmcnt(2)
	v_mul_f64 v[4:5], v[50:51], v[216:217]
	v_fmac_f64_e32 v[232:233], v[56:57], v[28:29]
	v_mul_f64 v[56:57], v[50:51], v[218:219]
	v_fma_f64 v[50:51], v[48:49], v[218:219], -v[4:5]
	v_accvgpr_read_b32 v4, a46
	v_accvgpr_read_b32 v5, a47
	s_waitcnt lgkmcnt(0)
	v_mul_f64 v[58:59], v[4:5], v[226:227]
	v_mul_f64 v[4:5], v[4:5], v[224:225]
	v_fmac_f64_e32 v[56:57], v[48:49], v[216:217]
	v_fma_f64 v[216:217], v[52:53], v[226:227], -v[4:5]
	v_add_f64 v[4:5], v[0:1], -v[32:33]
	v_add_f64 v[6:7], v[2:3], -v[6:7]
	v_fmac_f64_e32 v[54:55], v[48:49], v[20:21]
	v_fma_f64 v[0:1], v[0:1], 2.0, -v[4:5]
	v_fma_f64 v[2:3], v[2:3], 2.0, -v[6:7]
	v_add_f64 v[12:13], v[8:9], -v[34:35]
	v_add_f64 v[14:15], v[10:11], -v[14:15]
	v_accvgpr_read_b32 v32, a43
	v_fma_f64 v[8:9], v[8:9], 2.0, -v[12:13]
	v_fma_f64 v[10:11], v[10:11], 2.0, -v[14:15]
	v_add_f64 v[20:21], v[16:17], -v[54:55]
	v_add_f64 v[22:23], v[18:19], -v[22:23]
	s_waitcnt lgkmcnt(0)
	; wave barrier
	ds_write_b128 v32, v[0:3]
	ds_write_b128 v32, v[4:7] offset:32
	v_accvgpr_read_b32 v0, a48
	v_fma_f64 v[16:17], v[16:17], 2.0, -v[20:21]
	v_fma_f64 v[18:19], v[18:19], 2.0, -v[22:23]
	v_add_f64 v[28:29], v[24:25], -v[232:233]
	v_add_f64 v[30:31], v[26:27], -v[30:31]
	ds_write_b128 v0, v[8:11]
	ds_write_b128 v0, v[12:15] offset:32
	v_accvgpr_read_b32 v0, a49
	v_fmac_f64_e32 v[58:59], v[52:53], v[224:225]
	v_fma_f64 v[24:25], v[24:25], 2.0, -v[28:29]
	v_fma_f64 v[26:27], v[26:27], 2.0, -v[30:31]
	v_add_f64 v[48:49], v[212:213], -v[56:57]
	v_add_f64 v[50:51], v[214:215], -v[50:51]
	ds_write_b128 v0, v[16:19]
	ds_write_b128 v0, v[20:23] offset:32
	v_accvgpr_read_b32 v0, a50
	v_fma_f64 v[52:53], v[212:213], 2.0, -v[48:49]
	v_fma_f64 v[54:55], v[214:215], 2.0, -v[50:51]
	v_add_f64 v[56:57], v[220:221], -v[58:59]
	v_add_f64 v[58:59], v[222:223], -v[216:217]
	ds_write_b128 v0, v[24:27]
	ds_write_b128 v0, v[28:31] offset:32
	v_accvgpr_read_b32 v0, a51
	v_fma_f64 v[212:213], v[220:221], 2.0, -v[56:57]
	v_fma_f64 v[214:215], v[222:223], 2.0, -v[58:59]
	ds_write_b128 v0, v[52:55]
	ds_write_b128 v0, v[48:51] offset:32
	v_accvgpr_read_b32 v0, a52
	ds_write_b128 v0, v[212:215]
	ds_write_b128 v0, v[56:59] offset:32
	s_waitcnt lgkmcnt(0)
	; wave barrier
	s_waitcnt lgkmcnt(0)
	ds_read_b128 v[48:51], v228
	ds_read_b128 v[0:3], v228 offset:4032
	ds_read_b128 v[4:7], v228 offset:8064
	ds_read_b128 v[52:55], v228 offset:1008
	ds_read_b128 v[8:11], v228 offset:5040
	ds_read_b128 v[12:15], v228 offset:9072
	ds_read_b128 v[56:59], v228 offset:2016
	ds_read_b128 v[16:19], v228 offset:6048
	ds_read_b128 v[20:23], v228 offset:10080
	ds_read_b128 v[212:215], v228 offset:3024
	ds_read_b128 v[24:27], v228 offset:7056
	ds_read_b128 v[28:31], v228 offset:11088
	s_waitcnt lgkmcnt(10)
	v_mul_f64 v[32:33], v[66:67], v[2:3]
	v_fmac_f64_e32 v[32:33], v[64:65], v[0:1]
	v_mul_f64 v[0:1], v[66:67], v[0:1]
	v_fma_f64 v[34:35], v[64:65], v[2:3], -v[0:1]
	s_waitcnt lgkmcnt(9)
	v_mul_f64 v[0:1], v[62:63], v[4:5]
	v_mul_f64 v[64:65], v[62:63], v[6:7]
	v_fma_f64 v[6:7], v[60:61], v[6:7], -v[0:1]
	s_waitcnt lgkmcnt(7)
	v_mul_f64 v[0:1], v[70:71], v[8:9]
	v_fma_f64 v[62:63], v[68:69], v[10:11], -v[0:1]
	s_waitcnt lgkmcnt(6)
	v_mul_f64 v[0:1], v[74:75], v[12:13]
	v_mul_f64 v[66:67], v[74:75], v[14:15]
	v_fma_f64 v[14:15], v[72:73], v[14:15], -v[0:1]
	s_waitcnt lgkmcnt(4)
	v_mul_f64 v[0:1], v[78:79], v[16:17]
	v_fmac_f64_e32 v[64:65], v[60:61], v[4:5]
	v_mul_f64 v[60:61], v[70:71], v[10:11]
	v_fma_f64 v[70:71], v[76:77], v[18:19], -v[0:1]
	s_waitcnt lgkmcnt(3)
	v_mul_f64 v[0:1], v[82:83], v[20:21]
	v_fmac_f64_e32 v[60:61], v[68:69], v[8:9]
	v_fmac_f64_e32 v[66:67], v[72:73], v[12:13]
	v_mul_f64 v[68:69], v[78:79], v[18:19]
	v_mul_f64 v[72:73], v[82:83], v[22:23]
	v_fma_f64 v[22:23], v[80:81], v[22:23], -v[0:1]
	s_waitcnt lgkmcnt(1)
	v_mul_f64 v[0:1], v[86:87], v[24:25]
	v_fmac_f64_e32 v[68:69], v[76:77], v[16:17]
	v_fma_f64 v[76:77], v[84:85], v[26:27], -v[0:1]
	s_waitcnt lgkmcnt(0)
	v_mul_f64 v[0:1], v[90:91], v[28:29]
	v_add_f64 v[2:3], v[32:33], v[64:65]
	v_mul_f64 v[78:79], v[90:91], v[30:31]
	v_fma_f64 v[30:31], v[88:89], v[30:31], -v[0:1]
	v_add_f64 v[0:1], v[48:49], v[32:33]
	v_fmac_f64_e32 v[48:49], -0.5, v[2:3]
	v_add_f64 v[2:3], v[34:35], -v[6:7]
	v_fma_f64 v[4:5], s[0:1], v[2:3], v[48:49]
	v_fmac_f64_e32 v[48:49], s[8:9], v[2:3]
	v_add_f64 v[2:3], v[50:51], v[34:35]
	v_add_f64 v[2:3], v[2:3], v[6:7]
	v_add_f64 v[6:7], v[34:35], v[6:7]
	v_fmac_f64_e32 v[50:51], -0.5, v[6:7]
	v_add_f64 v[8:9], v[32:33], -v[64:65]
	v_add_f64 v[10:11], v[60:61], v[66:67]
	v_fma_f64 v[6:7], s[8:9], v[8:9], v[50:51]
	v_fmac_f64_e32 v[50:51], s[0:1], v[8:9]
	v_add_f64 v[8:9], v[52:53], v[60:61]
	v_fmac_f64_e32 v[52:53], -0.5, v[10:11]
	v_add_f64 v[10:11], v[62:63], -v[14:15]
	v_fma_f64 v[12:13], s[0:1], v[10:11], v[52:53]
	v_fmac_f64_e32 v[52:53], s[8:9], v[10:11]
	v_add_f64 v[10:11], v[54:55], v[62:63]
	v_fmac_f64_e32 v[72:73], v[80:81], v[20:21]
	v_add_f64 v[10:11], v[10:11], v[14:15]
	v_add_f64 v[14:15], v[62:63], v[14:15]
	v_fmac_f64_e32 v[54:55], -0.5, v[14:15]
	v_add_f64 v[16:17], v[60:61], -v[66:67]
	v_add_f64 v[18:19], v[68:69], v[72:73]
	v_fma_f64 v[14:15], s[8:9], v[16:17], v[54:55]
	v_fmac_f64_e32 v[54:55], s[0:1], v[16:17]
	v_add_f64 v[16:17], v[56:57], v[68:69]
	v_fmac_f64_e32 v[56:57], -0.5, v[18:19]
	v_add_f64 v[18:19], v[70:71], -v[22:23]
	v_mul_f64 v[74:75], v[86:87], v[26:27]
	v_fma_f64 v[20:21], s[0:1], v[18:19], v[56:57]
	v_fmac_f64_e32 v[56:57], s[8:9], v[18:19]
	v_add_f64 v[18:19], v[58:59], v[70:71]
	v_fmac_f64_e32 v[74:75], v[84:85], v[24:25]
	v_fmac_f64_e32 v[78:79], v[88:89], v[28:29]
	v_add_f64 v[18:19], v[18:19], v[22:23]
	v_add_f64 v[22:23], v[70:71], v[22:23]
	v_fmac_f64_e32 v[58:59], -0.5, v[22:23]
	v_add_f64 v[24:25], v[68:69], -v[72:73]
	v_add_f64 v[26:27], v[74:75], v[78:79]
	v_fma_f64 v[22:23], s[8:9], v[24:25], v[58:59]
	v_fmac_f64_e32 v[58:59], s[0:1], v[24:25]
	v_add_f64 v[24:25], v[212:213], v[74:75]
	v_fmac_f64_e32 v[212:213], -0.5, v[26:27]
	v_add_f64 v[26:27], v[76:77], -v[30:31]
	v_fma_f64 v[28:29], s[0:1], v[26:27], v[212:213]
	v_fmac_f64_e32 v[212:213], s[8:9], v[26:27]
	v_add_f64 v[26:27], v[214:215], v[76:77]
	v_add_f64 v[26:27], v[26:27], v[30:31]
	;; [unrolled: 1-line block ×3, first 2 shown]
	v_fmac_f64_e32 v[214:215], -0.5, v[30:31]
	v_add_f64 v[32:33], v[74:75], -v[78:79]
	v_add_f64 v[0:1], v[0:1], v[64:65]
	v_fma_f64 v[30:31], s[8:9], v[32:33], v[214:215]
	v_fmac_f64_e32 v[214:215], s[0:1], v[32:33]
	v_accvgpr_read_b32 v32, a53
	v_add_f64 v[8:9], v[8:9], v[66:67]
	s_waitcnt lgkmcnt(0)
	; wave barrier
	ds_write_b128 v32, v[0:3]
	ds_write_b128 v32, v[4:7] offset:64
	ds_write_b128 v32, v[48:51] offset:128
	v_accvgpr_read_b32 v0, a54
	v_add_f64 v[16:17], v[16:17], v[72:73]
	ds_write_b128 v0, v[8:11]
	ds_write_b128 v0, v[12:15] offset:64
	ds_write_b128 v0, v[52:55] offset:128
	v_accvgpr_read_b32 v0, a55
	v_add_f64 v[24:25], v[24:25], v[78:79]
	ds_write_b128 v0, v[16:19]
	ds_write_b128 v0, v[20:23] offset:64
	ds_write_b128 v0, v[56:59] offset:128
	v_accvgpr_read_b32 v0, a56
	ds_write_b128 v0, v[24:27]
	ds_write_b128 v0, v[28:31] offset:64
	ds_write_b128 v0, v[212:215] offset:128
	s_waitcnt lgkmcnt(0)
	; wave barrier
	s_waitcnt lgkmcnt(0)
	ds_read_b128 v[48:51], v228
	ds_read_b128 v[0:3], v228 offset:4032
	ds_read_b128 v[4:7], v228 offset:8064
	ds_read_b128 v[52:55], v228 offset:1008
	ds_read_b128 v[8:11], v228 offset:5040
	ds_read_b128 v[12:15], v228 offset:9072
	ds_read_b128 v[56:59], v228 offset:2016
	ds_read_b128 v[16:19], v228 offset:6048
	ds_read_b128 v[20:23], v228 offset:10080
	ds_read_b128 v[24:27], v228 offset:3024
	ds_read_b128 v[28:31], v228 offset:7056
	ds_read_b128 v[60:63], v228 offset:11088
	s_waitcnt lgkmcnt(10)
	v_mul_f64 v[32:33], v[94:95], v[2:3]
	v_fmac_f64_e32 v[32:33], v[92:93], v[0:1]
	v_mul_f64 v[0:1], v[94:95], v[0:1]
	v_fma_f64 v[34:35], v[92:93], v[2:3], -v[0:1]
	s_waitcnt lgkmcnt(9)
	v_mul_f64 v[0:1], v[98:99], v[4:5]
	v_mul_f64 v[64:65], v[98:99], v[6:7]
	v_fma_f64 v[6:7], v[96:97], v[6:7], -v[0:1]
	s_waitcnt lgkmcnt(7)
	v_mul_f64 v[0:1], v[102:103], v[8:9]
	v_fma_f64 v[68:69], v[100:101], v[10:11], -v[0:1]
	s_waitcnt lgkmcnt(6)
	v_mul_f64 v[0:1], v[106:107], v[12:13]
	v_mul_f64 v[70:71], v[106:107], v[14:15]
	v_fma_f64 v[14:15], v[104:105], v[14:15], -v[0:1]
	s_waitcnt lgkmcnt(4)
	v_mul_f64 v[0:1], v[110:111], v[16:17]
	v_fma_f64 v[74:75], v[108:109], v[18:19], -v[0:1]
	s_waitcnt lgkmcnt(3)
	v_mul_f64 v[0:1], v[114:115], v[20:21]
	v_fmac_f64_e32 v[64:65], v[96:97], v[4:5]
	v_mul_f64 v[76:77], v[114:115], v[22:23]
	v_fma_f64 v[22:23], v[112:113], v[22:23], -v[0:1]
	s_waitcnt lgkmcnt(1)
	v_mul_f64 v[0:1], v[118:119], v[28:29]
	v_fma_f64 v[80:81], v[116:117], v[30:31], -v[0:1]
	s_waitcnt lgkmcnt(0)
	v_mul_f64 v[0:1], v[122:123], v[60:61]
	v_add_f64 v[2:3], v[32:33], v[64:65]
	v_mul_f64 v[82:83], v[122:123], v[62:63]
	v_fma_f64 v[62:63], v[120:121], v[62:63], -v[0:1]
	v_add_f64 v[0:1], v[48:49], v[32:33]
	v_fmac_f64_e32 v[48:49], -0.5, v[2:3]
	v_add_f64 v[2:3], v[34:35], -v[6:7]
	v_mul_f64 v[66:67], v[102:103], v[10:11]
	v_fma_f64 v[4:5], s[0:1], v[2:3], v[48:49]
	v_fmac_f64_e32 v[48:49], s[8:9], v[2:3]
	v_add_f64 v[2:3], v[50:51], v[34:35]
	v_fmac_f64_e32 v[66:67], v[100:101], v[8:9]
	v_fmac_f64_e32 v[70:71], v[104:105], v[12:13]
	v_add_f64 v[2:3], v[2:3], v[6:7]
	v_add_f64 v[6:7], v[34:35], v[6:7]
	v_fmac_f64_e32 v[50:51], -0.5, v[6:7]
	v_add_f64 v[8:9], v[32:33], -v[64:65]
	v_add_f64 v[10:11], v[66:67], v[70:71]
	v_fma_f64 v[6:7], s[8:9], v[8:9], v[50:51]
	v_fmac_f64_e32 v[50:51], s[0:1], v[8:9]
	v_add_f64 v[8:9], v[52:53], v[66:67]
	v_fmac_f64_e32 v[52:53], -0.5, v[10:11]
	v_add_f64 v[10:11], v[68:69], -v[14:15]
	v_mul_f64 v[72:73], v[110:111], v[18:19]
	v_fma_f64 v[12:13], s[0:1], v[10:11], v[52:53]
	v_fmac_f64_e32 v[52:53], s[8:9], v[10:11]
	v_add_f64 v[10:11], v[54:55], v[68:69]
	v_fmac_f64_e32 v[72:73], v[108:109], v[16:17]
	v_fmac_f64_e32 v[76:77], v[112:113], v[20:21]
	v_add_f64 v[10:11], v[10:11], v[14:15]
	v_add_f64 v[14:15], v[68:69], v[14:15]
	v_fmac_f64_e32 v[54:55], -0.5, v[14:15]
	v_add_f64 v[16:17], v[66:67], -v[70:71]
	v_add_f64 v[18:19], v[72:73], v[76:77]
	v_fma_f64 v[14:15], s[8:9], v[16:17], v[54:55]
	v_fmac_f64_e32 v[54:55], s[0:1], v[16:17]
	;; [unrolled: 16-line block ×3, first 2 shown]
	v_add_f64 v[28:29], v[24:25], v[78:79]
	v_fmac_f64_e32 v[24:25], -0.5, v[30:31]
	v_add_f64 v[30:31], v[80:81], -v[62:63]
	v_add_f64 v[32:33], v[80:81], v[62:63]
	v_fma_f64 v[60:61], s[0:1], v[30:31], v[24:25]
	v_fmac_f64_e32 v[24:25], s[8:9], v[30:31]
	v_add_f64 v[30:31], v[26:27], v[80:81]
	v_fmac_f64_e32 v[26:27], -0.5, v[32:33]
	v_add_f64 v[32:33], v[78:79], -v[82:83]
	v_add_f64 v[0:1], v[0:1], v[64:65]
	v_add_f64 v[30:31], v[30:31], v[62:63]
	v_fma_f64 v[62:63], s[8:9], v[32:33], v[26:27]
	v_fmac_f64_e32 v[26:27], s[0:1], v[32:33]
	v_accvgpr_read_b32 v32, a57
	v_add_f64 v[8:9], v[8:9], v[70:71]
	s_waitcnt lgkmcnt(0)
	; wave barrier
	ds_write_b128 v32, v[0:3]
	ds_write_b128 v32, v[4:7] offset:192
	ds_write_b128 v32, v[48:51] offset:384
	v_accvgpr_read_b32 v0, a58
	v_add_f64 v[16:17], v[16:17], v[76:77]
	ds_write_b128 v0, v[8:11]
	ds_write_b128 v0, v[12:15] offset:192
	ds_write_b128 v0, v[52:55] offset:384
	v_accvgpr_read_b32 v0, a59
	v_add_f64 v[28:29], v[28:29], v[82:83]
	ds_write_b128 v0, v[16:19]
	ds_write_b128 v0, v[20:23] offset:192
	ds_write_b128 v0, v[56:59] offset:384
	v_accvgpr_read_b32 v0, a60
	ds_write_b128 v0, v[28:31]
	ds_write_b128 v0, v[60:63] offset:192
	ds_write_b128 v0, v[24:27] offset:384
	s_waitcnt lgkmcnt(0)
	; wave barrier
	s_waitcnt lgkmcnt(0)
	ds_read_b128 v[68:71], v228
	ds_read_b128 v[0:3], v228 offset:4032
	ds_read_b128 v[4:7], v228 offset:8064
	;; [unrolled: 1-line block ×11, first 2 shown]
	s_waitcnt lgkmcnt(10)
	v_mul_f64 v[32:33], v[126:127], v[2:3]
	v_fmac_f64_e32 v[32:33], v[124:125], v[0:1]
	v_mul_f64 v[0:1], v[126:127], v[0:1]
	v_fma_f64 v[34:35], v[124:125], v[2:3], -v[0:1]
	s_waitcnt lgkmcnt(9)
	v_mul_f64 v[0:1], v[130:131], v[4:5]
	v_mul_f64 v[56:57], v[130:131], v[6:7]
	v_fma_f64 v[6:7], v[128:129], v[6:7], -v[0:1]
	s_waitcnt lgkmcnt(7)
	v_mul_f64 v[0:1], v[134:135], v[8:9]
	v_fma_f64 v[60:61], v[132:133], v[10:11], -v[0:1]
	s_waitcnt lgkmcnt(6)
	v_mul_f64 v[0:1], v[138:139], v[12:13]
	v_mul_f64 v[62:63], v[138:139], v[14:15]
	v_fma_f64 v[14:15], v[136:137], v[14:15], -v[0:1]
	s_waitcnt lgkmcnt(4)
	v_mul_f64 v[0:1], v[142:143], v[16:17]
	v_fma_f64 v[66:67], v[140:141], v[18:19], -v[0:1]
	s_waitcnt lgkmcnt(3)
	v_mul_f64 v[76:77], v[146:147], v[22:23]
	v_mul_f64 v[0:1], v[146:147], v[20:21]
	v_fmac_f64_e32 v[56:57], v[128:129], v[4:5]
	v_fmac_f64_e32 v[76:77], v[144:145], v[20:21]
	v_fma_f64 v[20:21], v[144:145], v[22:23], -v[0:1]
	s_waitcnt lgkmcnt(1)
	v_mul_f64 v[22:23], v[150:151], v[26:27]
	v_mul_f64 v[0:1], v[150:151], v[24:25]
	v_fmac_f64_e32 v[22:23], v[148:149], v[24:25]
	v_fma_f64 v[24:25], v[148:149], v[26:27], -v[0:1]
	s_waitcnt lgkmcnt(0)
	v_mul_f64 v[26:27], v[154:155], v[30:31]
	v_mul_f64 v[0:1], v[154:155], v[28:29]
	v_add_f64 v[2:3], v[32:33], v[56:57]
	v_fmac_f64_e32 v[26:27], v[152:153], v[28:29]
	v_fma_f64 v[28:29], v[152:153], v[30:31], -v[0:1]
	v_add_f64 v[0:1], v[68:69], v[32:33]
	v_fmac_f64_e32 v[68:69], -0.5, v[2:3]
	v_add_f64 v[2:3], v[34:35], -v[6:7]
	v_mul_f64 v[58:59], v[134:135], v[10:11]
	v_fma_f64 v[4:5], s[0:1], v[2:3], v[68:69]
	v_fmac_f64_e32 v[68:69], s[8:9], v[2:3]
	v_add_f64 v[2:3], v[70:71], v[34:35]
	v_fmac_f64_e32 v[58:59], v[132:133], v[8:9]
	v_fmac_f64_e32 v[62:63], v[136:137], v[12:13]
	v_add_f64 v[2:3], v[2:3], v[6:7]
	v_add_f64 v[6:7], v[34:35], v[6:7]
	v_fmac_f64_e32 v[70:71], -0.5, v[6:7]
	v_add_f64 v[8:9], v[32:33], -v[56:57]
	v_add_f64 v[10:11], v[58:59], v[62:63]
	v_fma_f64 v[6:7], s[8:9], v[8:9], v[70:71]
	v_fmac_f64_e32 v[70:71], s[0:1], v[8:9]
	v_add_f64 v[8:9], v[72:73], v[58:59]
	v_fmac_f64_e32 v[72:73], -0.5, v[10:11]
	v_add_f64 v[10:11], v[60:61], -v[14:15]
	v_mul_f64 v[64:65], v[142:143], v[18:19]
	v_fma_f64 v[12:13], s[0:1], v[10:11], v[72:73]
	v_fmac_f64_e32 v[72:73], s[8:9], v[10:11]
	v_add_f64 v[10:11], v[74:75], v[60:61]
	v_fmac_f64_e32 v[64:65], v[140:141], v[16:17]
	v_add_f64 v[10:11], v[10:11], v[14:15]
	v_add_f64 v[14:15], v[60:61], v[14:15]
	v_fmac_f64_e32 v[74:75], -0.5, v[14:15]
	v_add_f64 v[16:17], v[58:59], -v[62:63]
	v_add_f64 v[18:19], v[64:65], v[76:77]
	v_fma_f64 v[14:15], s[8:9], v[16:17], v[74:75]
	v_fmac_f64_e32 v[74:75], s[0:1], v[16:17]
	v_add_f64 v[16:17], v[48:49], v[64:65]
	v_fmac_f64_e32 v[48:49], -0.5, v[18:19]
	v_add_f64 v[18:19], v[66:67], -v[20:21]
	v_add_f64 v[0:1], v[0:1], v[56:57]
	v_fma_f64 v[56:57], s[0:1], v[18:19], v[48:49]
	v_fmac_f64_e32 v[48:49], s[8:9], v[18:19]
	v_add_f64 v[18:19], v[50:51], v[66:67]
	v_add_f64 v[18:19], v[18:19], v[20:21]
	v_add_f64 v[20:21], v[66:67], v[20:21]
	v_fmac_f64_e32 v[50:51], -0.5, v[20:21]
	v_add_f64 v[20:21], v[64:65], -v[76:77]
	v_fma_f64 v[58:59], s[8:9], v[20:21], v[50:51]
	v_fmac_f64_e32 v[50:51], s[0:1], v[20:21]
	v_add_f64 v[20:21], v[52:53], v[22:23]
	v_add_f64 v[60:61], v[20:21], v[26:27]
	;; [unrolled: 1-line block ×3, first 2 shown]
	v_fmac_f64_e32 v[52:53], -0.5, v[20:21]
	v_add_f64 v[20:21], v[24:25], -v[28:29]
	v_fma_f64 v[64:65], s[0:1], v[20:21], v[52:53]
	v_fmac_f64_e32 v[52:53], s[8:9], v[20:21]
	v_add_f64 v[20:21], v[54:55], v[24:25]
	v_add_f64 v[8:9], v[8:9], v[62:63]
	;; [unrolled: 1-line block ×4, first 2 shown]
	v_fmac_f64_e32 v[54:55], -0.5, v[20:21]
	v_add_f64 v[20:21], v[22:23], -v[26:27]
	v_fma_f64 v[66:67], s[8:9], v[20:21], v[54:55]
	v_fmac_f64_e32 v[54:55], s[0:1], v[20:21]
	v_accvgpr_read_b32 v20, a61
	s_waitcnt lgkmcnt(0)
	; wave barrier
	ds_write_b128 v20, v[0:3]
	ds_write_b128 v20, v[4:7] offset:576
	ds_write_b128 v20, v[68:71] offset:1152
	v_accvgpr_read_b32 v0, a62
	v_add_f64 v[16:17], v[16:17], v[76:77]
	ds_write_b128 v0, v[8:11]
	ds_write_b128 v0, v[12:15] offset:576
	ds_write_b128 v0, v[72:75] offset:1152
	ds_write_b128 v231, v[16:19]
	ds_write_b128 v231, v[56:59] offset:576
	ds_write_b128 v231, v[48:51] offset:1152
	;; [unrolled: 3-line block ×3, first 2 shown]
	s_waitcnt lgkmcnt(0)
	; wave barrier
	s_waitcnt lgkmcnt(0)
	ds_read_b128 v[68:71], v228
	ds_read_b128 v[92:95], v228 offset:1728
	ds_read_b128 v[88:91], v228 offset:3456
	;; [unrolled: 1-line block ×6, first 2 shown]
	s_and_saveexec_b64 s[0:1], vcc
	s_cbranch_execz .LBB0_7
; %bb.6:
	ds_read_b128 v[56:59], v228 offset:1008
	ds_read_b128 v[48:51], v228 offset:2736
	;; [unrolled: 1-line block ×7, first 2 shown]
.LBB0_7:
	s_or_b64 exec, exec, s[0:1]
	s_waitcnt lgkmcnt(5)
	v_mul_f64 v[0:1], v[194:195], v[94:95]
	s_waitcnt lgkmcnt(4)
	v_mul_f64 v[4:5], v[186:187], v[90:91]
	;; [unrolled: 2-line block ×4, first 2 shown]
	v_fmac_f64_e32 v[0:1], v[192:193], v[92:93]
	v_mul_f64 v[2:3], v[194:195], v[92:93]
	v_fmac_f64_e32 v[4:5], v[184:185], v[88:89]
	v_mul_f64 v[6:7], v[186:187], v[88:89]
	v_mul_f64 v[8:9], v[182:183], v[86:87]
	;; [unrolled: 1-line block ×3, first 2 shown]
	v_fmac_f64_e32 v[16:17], v[200:201], v[76:77]
	v_mul_f64 v[18:19], v[202:203], v[76:77]
	v_fmac_f64_e32 v[20:21], v[188:189], v[72:73]
	v_mul_f64 v[22:23], v[190:191], v[72:73]
	v_fma_f64 v[2:3], v[192:193], v[94:95], -v[2:3]
	v_fma_f64 v[6:7], v[184:185], v[90:91], -v[6:7]
	v_fmac_f64_e32 v[8:9], v[180:181], v[84:85]
	v_mul_f64 v[10:11], v[182:183], v[84:85]
	v_fmac_f64_e32 v[12:13], v[176:177], v[80:81]
	v_mul_f64 v[14:15], v[178:179], v[80:81]
	v_fma_f64 v[18:19], v[200:201], v[78:79], -v[18:19]
	v_fma_f64 v[22:23], v[188:189], v[74:75], -v[22:23]
	v_add_f64 v[24:25], v[0:1], v[20:21]
	v_add_f64 v[0:1], v[0:1], -v[20:21]
	v_add_f64 v[20:21], v[4:5], v[16:17]
	v_fma_f64 v[10:11], v[180:181], v[86:87], -v[10:11]
	v_fma_f64 v[14:15], v[176:177], v[82:83], -v[14:15]
	v_add_f64 v[26:27], v[2:3], v[22:23]
	v_add_f64 v[2:3], v[2:3], -v[22:23]
	v_add_f64 v[22:23], v[6:7], v[18:19]
	v_add_f64 v[4:5], v[4:5], -v[16:17]
	;; [unrolled: 2-line block ×5, first 2 shown]
	v_add_f64 v[14:15], v[22:23], v[26:27]
	v_add_f64 v[32:33], v[8:9], v[4:5]
	;; [unrolled: 1-line block ×3, first 2 shown]
	v_add_f64 v[28:29], v[20:21], -v[24:25]
	v_add_f64 v[24:25], v[24:25], -v[16:17]
	;; [unrolled: 1-line block ×3, first 2 shown]
	v_add_f64 v[34:35], v[10:11], v[6:7]
	v_add_f64 v[72:73], v[8:9], -v[4:5]
	v_add_f64 v[8:9], v[0:1], -v[8:9]
	;; [unrolled: 1-line block ×3, first 2 shown]
	v_add_f64 v[14:15], v[18:19], v[14:15]
	v_add_f64 v[16:17], v[32:33], v[0:1]
	;; [unrolled: 1-line block ×3, first 2 shown]
	s_mov_b32 s10, 0x37e14327
	s_mov_b32 s12, 0x36b3c0b5
	;; [unrolled: 1-line block ×5, first 2 shown]
	v_add_f64 v[30:31], v[22:23], -v[26:27]
	v_add_f64 v[26:27], v[26:27], -v[18:19]
	;; [unrolled: 1-line block ×6, first 2 shown]
	v_add_f64 v[18:19], v[34:35], v[2:3]
	v_add_f64 v[2:3], v[70:71], v[14:15]
	s_mov_b32 s11, 0x3fe948f6
	s_mov_b32 s13, 0x3fac98ee
	;; [unrolled: 1-line block ×5, first 2 shown]
	v_mov_b64_e32 v[76:77], v[0:1]
	s_mov_b32 s8, 0x5476071b
	s_mov_b32 s24, 0xb247c609
	v_mul_f64 v[24:25], v[24:25], s[10:11]
	v_mul_f64 v[26:27], v[26:27], s[10:11]
	;; [unrolled: 1-line block ×8, first 2 shown]
	v_fmac_f64_e32 v[76:77], s[22:23], v[12:13]
	v_mov_b64_e32 v[12:13], v[2:3]
	s_mov_b32 s9, 0x3fe77f67
	s_mov_b32 s17, 0xbfe77f67
	;; [unrolled: 1-line block ×7, first 2 shown]
	v_fmac_f64_e32 v[12:13], s[22:23], v[14:15]
	v_fma_f64 v[14:15], v[28:29], s[8:9], -v[32:33]
	v_fma_f64 v[32:33], v[30:31], s[8:9], -v[34:35]
	;; [unrolled: 1-line block ×3, first 2 shown]
	v_fmac_f64_e32 v[24:25], s[12:13], v[20:21]
	v_fma_f64 v[20:21], v[30:31], s[16:17], -v[26:27]
	v_fmac_f64_e32 v[26:27], s[12:13], v[22:23]
	v_fma_f64 v[22:23], v[4:5], s[0:1], -v[68:69]
	;; [unrolled: 2-line block ×4, first 2 shown]
	v_fma_f64 v[72:73], v[10:11], s[20:21], -v[74:75]
	s_mov_b32 s19, 0xbfdc38aa
	v_add_f64 v[24:25], v[24:25], v[76:77]
	v_add_f64 v[26:27], v[26:27], v[12:13]
	;; [unrolled: 1-line block ×6, first 2 shown]
	v_fmac_f64_e32 v[68:69], s[18:19], v[16:17]
	v_fmac_f64_e32 v[70:71], s[18:19], v[18:19]
	v_fmac_f64_e32 v[22:23], s[18:19], v[16:17]
	v_fmac_f64_e32 v[30:31], s[18:19], v[18:19]
	v_fmac_f64_e32 v[34:35], s[18:19], v[16:17]
	v_fmac_f64_e32 v[72:73], s[18:19], v[18:19]
	v_add_f64 v[4:5], v[70:71], v[24:25]
	v_add_f64 v[6:7], v[26:27], -v[68:69]
	v_add_f64 v[8:9], v[72:73], v[28:29]
	v_add_f64 v[10:11], v[76:77], -v[34:35]
	v_add_f64 v[12:13], v[74:75], -v[30:31]
	v_add_f64 v[14:15], v[22:23], v[32:33]
	v_add_f64 v[16:17], v[30:31], v[74:75]
	v_add_f64 v[18:19], v[32:33], -v[22:23]
	v_add_f64 v[20:21], v[28:29], -v[72:73]
	v_add_f64 v[22:23], v[34:35], v[76:77]
	v_add_f64 v[24:25], v[24:25], -v[70:71]
	v_add_f64 v[26:27], v[68:69], v[26:27]
	ds_write_b128 v228, v[0:3]
	ds_write_b128 v228, v[4:7] offset:1728
	ds_write_b128 v228, v[8:11] offset:3456
	ds_write_b128 v228, v[12:15] offset:5184
	ds_write_b128 v228, v[16:19] offset:6912
	ds_write_b128 v228, v[20:23] offset:8640
	ds_write_b128 v228, v[24:27] offset:10368
	s_and_saveexec_b64 s[26:27], vcc
	s_cbranch_execz .LBB0_9
; %bb.8:
	v_mul_f64 v[0:1], v[170:171], v[50:51]
	v_mul_f64 v[4:5], v[174:175], v[210:211]
	v_mul_f64 v[10:11], v[158:159], v[54:55]
	v_mul_f64 v[12:13], v[162:163], v[66:67]
	v_mul_f64 v[16:17], v[166:167], v[62:63]
	v_mul_f64 v[18:19], v[198:199], v[206:207]
	v_fmac_f64_e32 v[0:1], v[168:169], v[48:49]
	v_fmac_f64_e32 v[4:5], v[172:173], v[208:209]
	;; [unrolled: 1-line block ×6, first 2 shown]
	v_add_f64 v[8:9], v[0:1], -v[4:5]
	v_add_f64 v[2:3], v[10:11], -v[12:13]
	;; [unrolled: 1-line block ×5, first 2 shown]
	v_add_f64 v[2:3], v[2:3], v[20:21]
	v_add_f64 v[26:27], v[2:3], v[8:9]
	v_mul_f64 v[2:3], v[174:175], v[208:209]
	v_fma_f64 v[28:29], v[172:173], v[210:211], -v[2:3]
	v_mul_f64 v[2:3], v[170:171], v[48:49]
	v_fma_f64 v[30:31], v[168:169], v[50:51], -v[2:3]
	v_mul_f64 v[2:3], v[198:199], v[204:205]
	v_mul_f64 v[22:23], v[6:7], s[14:15]
	v_fma_f64 v[34:35], v[196:197], v[206:207], -v[2:3]
	v_mul_f64 v[2:3], v[166:167], v[60:61]
	v_mul_f64 v[6:7], v[162:163], v[64:65]
	v_fma_f64 v[48:49], v[164:165], v[62:63], -v[2:3]
	v_fma_f64 v[60:61], v[160:161], v[66:67], -v[6:7]
	v_mul_f64 v[6:7], v[158:159], v[52:53]
	v_add_f64 v[66:67], v[0:1], v[4:5]
	v_add_f64 v[16:17], v[16:17], v[18:19]
	v_add_f64 v[32:33], v[30:31], v[28:29]
	v_add_f64 v[50:51], v[48:49], v[34:35]
	v_fma_f64 v[52:53], v[156:157], v[54:55], -v[6:7]
	v_add_f64 v[0:1], v[16:17], v[66:67]
	v_add_f64 v[4:5], v[12:13], v[10:11]
	;; [unrolled: 1-line block ×8, first 2 shown]
	v_mov_b64_e32 v[12:13], v[0:1]
	v_mov_b64_e32 v[58:59], v[2:3]
	v_fmac_f64_e32 v[12:13], s[22:23], v[10:11]
	v_add_f64 v[10:11], v[66:67], -v[4:5]
	v_add_f64 v[20:21], v[20:21], -v[8:9]
	v_fmac_f64_e32 v[58:59], s[22:23], v[54:55]
	v_add_f64 v[54:55], v[32:33], -v[6:7]
	v_mul_f64 v[18:19], v[10:11], s[10:11]
	v_add_f64 v[4:5], v[4:5], -v[16:17]
	v_mul_f64 v[8:9], v[20:21], s[0:1]
	v_fma_f64 v[24:25], s[24:25], v[14:15], v[22:23]
	v_mul_f64 v[54:55], v[54:55], s[10:11]
	v_mul_f64 v[56:57], v[4:5], s[12:13]
	v_fma_f64 v[4:5], s[12:13], v[4:5], v[18:19]
	v_fma_f64 v[70:71], v[14:15], s[20:21], -v[8:9]
	v_add_f64 v[14:15], v[50:51], -v[32:33]
	v_add_f64 v[68:69], v[4:5], v[12:13]
	v_add_f64 v[28:29], v[30:31], -v[28:29]
	v_add_f64 v[4:5], v[52:53], -v[60:61]
	;; [unrolled: 1-line block ×3, first 2 shown]
	v_fma_f64 v[8:9], v[14:15], s[16:17], -v[54:55]
	v_add_f64 v[16:17], v[16:17], -v[66:67]
	v_add_f64 v[6:7], v[6:7], -v[50:51]
	;; [unrolled: 1-line block ×3, first 2 shown]
	v_add_f64 v[32:33], v[8:9], v[58:59]
	v_fma_f64 v[8:9], v[16:17], s[16:17], -v[18:19]
	v_add_f64 v[18:19], v[34:35], -v[28:29]
	v_mul_f64 v[62:63], v[6:7], s[12:13]
	v_add_f64 v[30:31], v[28:29], -v[4:5]
	v_mul_f64 v[48:49], v[10:11], s[14:15]
	v_add_f64 v[4:5], v[4:5], v[34:35]
	v_add_f64 v[50:51], v[8:9], v[12:13]
	v_mul_f64 v[8:9], v[18:19], s[0:1]
	v_fma_f64 v[6:7], s[12:13], v[6:7], v[54:55]
	v_fma_f64 v[52:53], s[24:25], v[30:31], v[48:49]
	v_add_f64 v[60:61], v[4:5], v[28:29]
	v_fma_f64 v[28:29], v[30:31], s[20:21], -v[8:9]
	v_fma_f64 v[14:15], v[14:15], s[8:9], -v[62:63]
	;; [unrolled: 1-line block ×5, first 2 shown]
	v_fmac_f64_e32 v[24:25], s[18:19], v[26:27]
	v_add_f64 v[64:65], v[6:7], v[58:59]
	v_fmac_f64_e32 v[52:53], s[18:19], v[60:61]
	v_fmac_f64_e32 v[70:71], s[18:19], v[26:27]
	;; [unrolled: 1-line block ×3, first 2 shown]
	v_add_f64 v[30:31], v[14:15], v[58:59]
	v_fmac_f64_e32 v[20:21], s[18:19], v[26:27]
	v_add_f64 v[16:17], v[16:17], v[12:13]
	v_fmac_f64_e32 v[22:23], s[18:19], v[60:61]
	v_add_f64 v[6:7], v[24:25], v[64:65]
	v_add_f64 v[4:5], v[68:69], -v[52:53]
	v_add_f64 v[10:11], v[70:71], v[32:33]
	v_add_f64 v[8:9], v[50:51], -v[28:29]
	v_add_f64 v[14:15], v[30:31], -v[20:21]
	v_add_f64 v[12:13], v[22:23], v[16:17]
	v_add_f64 v[18:19], v[20:21], v[30:31]
	v_add_f64 v[16:17], v[16:17], -v[22:23]
	v_add_f64 v[22:23], v[32:33], -v[70:71]
	v_add_f64 v[20:21], v[28:29], v[50:51]
	v_add_f64 v[26:27], v[64:65], -v[24:25]
	v_add_f64 v[24:25], v[52:53], v[68:69]
	ds_write_b128 v228, v[0:3] offset:1008
	ds_write_b128 v228, v[24:27] offset:2736
	;; [unrolled: 1-line block ×7, first 2 shown]
.LBB0_9:
	s_or_b64 exec, exec, s[26:27]
	s_waitcnt lgkmcnt(0)
	; wave barrier
	s_waitcnt lgkmcnt(0)
	ds_read_b128 v[0:3], v228
	v_accvgpr_read_b32 v6, a32
	v_mad_u64_u32 v[14:15], s[0:1], s6, v6, 0
	v_mov_b32_e32 v4, v15
	v_accvgpr_read_b32 v19, a15
	v_mad_u64_u32 v[4:5], s[0:1], s7, v6, v[4:5]
	v_accvgpr_read_b32 v18, a14
	v_mov_b32_e32 v15, v4
	ds_read_b128 v[4:7], v228 offset:1008
	v_accvgpr_read_b32 v17, a13
	v_accvgpr_read_b32 v16, a12
	s_waitcnt lgkmcnt(1)
	v_mul_f64 v[8:9], v[18:19], v[2:3]
	v_fmac_f64_e32 v[8:9], v[16:17], v[0:1]
	s_mov_b32 s0, 0x6b015ac0
	v_mul_f64 v[0:1], v[18:19], v[0:1]
	v_mov_b32_e32 v12, s2
	v_mov_b32_e32 v13, s3
	s_mov_b32 s1, 0x3f55ac05
	v_fma_f64 v[0:1], v[16:17], v[2:3], -v[0:1]
	v_mad_u64_u32 v[16:17], s[2:3], s4, v230, 0
	v_mul_f64 v[10:11], v[0:1], s[0:1]
	v_mov_b32_e32 v0, v17
	v_mad_u64_u32 v[0:1], s[2:3], s5, v230, v[0:1]
	v_mov_b32_e32 v17, v0
	ds_read_b128 v[0:3], v228 offset:6048
	v_lshl_add_u64 v[12:13], v[14:15], 4, v[12:13]
	v_accvgpr_read_b32 v21, a7
	v_mul_f64 v[8:9], v[8:9], s[0:1]
	v_lshl_add_u64 v[16:17], v[16:17], 4, v[12:13]
	v_accvgpr_read_b32 v20, a6
	global_store_dwordx4 v[16:17], v[8:11], off
	ds_read_b128 v[8:11], v228 offset:7056
	v_accvgpr_read_b32 v19, a5
	v_accvgpr_read_b32 v18, a4
	s_waitcnt lgkmcnt(1)
	v_mul_f64 v[12:13], v[20:21], v[2:3]
	v_fmac_f64_e32 v[12:13], v[18:19], v[0:1]
	v_mul_f64 v[0:1], v[20:21], v[0:1]
	v_fma_f64 v[0:1], v[18:19], v[2:3], -v[0:1]
	v_mov_b32_e32 v18, 0x17a0
	v_mad_u64_u32 v[16:17], s[2:3], s4, v18, v[16:17]
	s_mul_i32 s2, s5, 0x17a0
	v_mul_f64 v[12:13], v[12:13], s[0:1]
	v_mul_f64 v[14:15], v[0:1], s[0:1]
	v_add_u32_e32 v17, s2, v17
	global_store_dwordx4 v[16:17], v[12:15], off
	v_mov_b32_e32 v19, 0xffffec50
	s_mul_i32 s3, s5, 0xffffec50
	v_accvgpr_read_b32 v12, a34
	v_accvgpr_read_b32 v14, a36
	;; [unrolled: 1-line block ×4, first 2 shown]
	v_mul_f64 v[0:1], v[14:15], v[6:7]
	v_mul_f64 v[2:3], v[14:15], v[4:5]
	v_fmac_f64_e32 v[0:1], v[12:13], v[4:5]
	v_fma_f64 v[2:3], v[12:13], v[6:7], -v[2:3]
	v_mad_u64_u32 v[12:13], s[6:7], s4, v19, v[16:17]
	s_sub_i32 s3, s3, s4
	ds_read_b128 v[4:7], v228 offset:2016
	v_mul_f64 v[0:1], v[0:1], s[0:1]
	v_mul_f64 v[2:3], v[2:3], s[0:1]
	v_add_u32_e32 v13, s3, v13
	global_store_dwordx4 v[12:13], v[0:3], off
	v_mad_u64_u32 v[12:13], s[6:7], s4, v18, v[12:13]
	s_waitcnt lgkmcnt(1)
	v_mul_f64 v[0:1], v[46:47], v[10:11]
	v_mul_f64 v[2:3], v[46:47], v[8:9]
	v_fmac_f64_e32 v[0:1], v[44:45], v[8:9]
	v_fma_f64 v[2:3], v[44:45], v[10:11], -v[2:3]
	v_accvgpr_read_b32 v14, a20
	v_mul_f64 v[0:1], v[0:1], s[0:1]
	v_mul_f64 v[2:3], v[2:3], s[0:1]
	v_add_u32_e32 v13, s2, v13
	v_accvgpr_read_b32 v16, a22
	v_accvgpr_read_b32 v17, a23
	global_store_dwordx4 v[12:13], v[0:3], off
	ds_read_b128 v[0:3], v228 offset:3024
	v_accvgpr_read_b32 v15, a21
	s_waitcnt lgkmcnt(1)
	v_mul_f64 v[8:9], v[16:17], v[6:7]
	v_fmac_f64_e32 v[8:9], v[14:15], v[4:5]
	v_mul_f64 v[4:5], v[16:17], v[4:5]
	v_fma_f64 v[4:5], v[14:15], v[6:7], -v[4:5]
	v_mul_f64 v[10:11], v[4:5], s[0:1]
	ds_read_b128 v[4:7], v228 offset:8064
	v_mad_u64_u32 v[16:17], s[6:7], s4, v19, v[12:13]
	v_accvgpr_read_b32 v23, a11
	v_mul_f64 v[8:9], v[8:9], s[0:1]
	v_add_u32_e32 v17, s3, v17
	v_accvgpr_read_b32 v22, a10
	global_store_dwordx4 v[16:17], v[8:11], off
	ds_read_b128 v[8:11], v228 offset:9072
	v_accvgpr_read_b32 v21, a9
	v_accvgpr_read_b32 v20, a8
	s_waitcnt lgkmcnt(1)
	v_mul_f64 v[12:13], v[22:23], v[6:7]
	v_fmac_f64_e32 v[12:13], v[20:21], v[4:5]
	v_mul_f64 v[4:5], v[22:23], v[4:5]
	v_fma_f64 v[4:5], v[20:21], v[6:7], -v[4:5]
	v_mad_u64_u32 v[16:17], s[6:7], s4, v18, v[16:17]
	v_mul_f64 v[12:13], v[12:13], s[0:1]
	v_mul_f64 v[14:15], v[4:5], s[0:1]
	v_add_u32_e32 v17, s2, v17
	global_store_dwordx4 v[16:17], v[12:15], off
	v_accvgpr_read_b32 v23, a3
	v_accvgpr_read_b32 v22, a2
	;; [unrolled: 1-line block ×6, first 2 shown]
	v_mul_f64 v[4:5], v[14:15], v[2:3]
	v_fmac_f64_e32 v[4:5], v[12:13], v[0:1]
	v_mul_f64 v[0:1], v[14:15], v[0:1]
	v_fma_f64 v[0:1], v[12:13], v[2:3], -v[0:1]
	v_mad_u64_u32 v[12:13], s[6:7], s4, v19, v[16:17]
	v_mul_f64 v[4:5], v[4:5], s[0:1]
	v_mul_f64 v[6:7], v[0:1], s[0:1]
	v_add_u32_e32 v13, s3, v13
	global_store_dwordx4 v[12:13], v[4:7], off
	ds_read_b128 v[4:7], v228 offset:4032
	s_waitcnt lgkmcnt(1)
	v_mul_f64 v[0:1], v[42:43], v[10:11]
	v_mul_f64 v[2:3], v[42:43], v[8:9]
	v_fmac_f64_e32 v[0:1], v[40:41], v[8:9]
	v_fma_f64 v[2:3], v[40:41], v[10:11], -v[2:3]
	v_mad_u64_u32 v[12:13], s[6:7], s4, v18, v[12:13]
	v_accvgpr_read_b32 v14, a16
	v_mul_f64 v[0:1], v[0:1], s[0:1]
	v_mul_f64 v[2:3], v[2:3], s[0:1]
	v_add_u32_e32 v13, s2, v13
	v_accvgpr_read_b32 v16, a18
	v_accvgpr_read_b32 v17, a19
	global_store_dwordx4 v[12:13], v[0:3], off
	ds_read_b128 v[0:3], v228 offset:5040
	v_accvgpr_read_b32 v15, a17
	s_waitcnt lgkmcnt(1)
	v_mul_f64 v[8:9], v[16:17], v[6:7]
	v_fmac_f64_e32 v[8:9], v[14:15], v[4:5]
	v_mul_f64 v[4:5], v[16:17], v[4:5]
	v_fma_f64 v[4:5], v[14:15], v[6:7], -v[4:5]
	v_mul_f64 v[10:11], v[4:5], s[0:1]
	ds_read_b128 v[4:7], v228 offset:10080
	v_mad_u64_u32 v[16:17], s[6:7], s4, v19, v[12:13]
	v_mul_f64 v[8:9], v[8:9], s[0:1]
	v_add_u32_e32 v17, s3, v17
	global_store_dwordx4 v[16:17], v[8:11], off
	ds_read_b128 v[8:11], v228 offset:11088
	v_accvgpr_read_b32 v21, a1
	v_accvgpr_read_b32 v20, a0
	s_waitcnt lgkmcnt(1)
	v_mul_f64 v[12:13], v[22:23], v[6:7]
	v_fmac_f64_e32 v[12:13], v[20:21], v[4:5]
	v_mul_f64 v[4:5], v[22:23], v[4:5]
	v_fma_f64 v[4:5], v[20:21], v[6:7], -v[4:5]
	v_mad_u64_u32 v[16:17], s[6:7], s4, v18, v[16:17]
	v_mul_f64 v[12:13], v[12:13], s[0:1]
	v_mul_f64 v[14:15], v[4:5], s[0:1]
	v_add_u32_e32 v17, s2, v17
	global_store_dwordx4 v[16:17], v[12:15], off
	s_nop 1
	v_accvgpr_read_b32 v12, a24
	v_accvgpr_read_b32 v14, a26
	;; [unrolled: 1-line block ×4, first 2 shown]
	v_mul_f64 v[4:5], v[14:15], v[2:3]
	v_fmac_f64_e32 v[4:5], v[12:13], v[0:1]
	v_mul_f64 v[0:1], v[14:15], v[0:1]
	v_fma_f64 v[0:1], v[12:13], v[2:3], -v[0:1]
	v_mul_f64 v[6:7], v[0:1], s[0:1]
	v_mad_u64_u32 v[12:13], s[6:7], s4, v19, v[16:17]
	s_waitcnt lgkmcnt(0)
	v_mul_f64 v[0:1], v[38:39], v[10:11]
	v_mul_f64 v[2:3], v[38:39], v[8:9]
	;; [unrolled: 1-line block ×3, first 2 shown]
	v_add_u32_e32 v13, s3, v13
	v_fmac_f64_e32 v[0:1], v[36:37], v[8:9]
	v_fma_f64 v[2:3], v[36:37], v[10:11], -v[2:3]
	global_store_dwordx4 v[12:13], v[4:7], off
	v_mul_f64 v[0:1], v[0:1], s[0:1]
	v_mul_f64 v[2:3], v[2:3], s[0:1]
	v_mad_u64_u32 v[4:5], s[0:1], s4, v18, v[12:13]
	v_add_u32_e32 v5, s2, v5
	global_store_dwordx4 v[4:5], v[0:3], off
.LBB0_10:
	s_endpgm
	.section	.rodata,"a",@progbits
	.p2align	6, 0x0
	.amdhsa_kernel bluestein_single_fwd_len756_dim1_dp_op_CI_CI
		.amdhsa_group_segment_fixed_size 12096
		.amdhsa_private_segment_fixed_size 0
		.amdhsa_kernarg_size 104
		.amdhsa_user_sgpr_count 2
		.amdhsa_user_sgpr_dispatch_ptr 0
		.amdhsa_user_sgpr_queue_ptr 0
		.amdhsa_user_sgpr_kernarg_segment_ptr 1
		.amdhsa_user_sgpr_dispatch_id 0
		.amdhsa_user_sgpr_kernarg_preload_length 0
		.amdhsa_user_sgpr_kernarg_preload_offset 0
		.amdhsa_user_sgpr_private_segment_size 0
		.amdhsa_uses_dynamic_stack 0
		.amdhsa_enable_private_segment 0
		.amdhsa_system_sgpr_workgroup_id_x 1
		.amdhsa_system_sgpr_workgroup_id_y 0
		.amdhsa_system_sgpr_workgroup_id_z 0
		.amdhsa_system_sgpr_workgroup_info 0
		.amdhsa_system_vgpr_workitem_id 0
		.amdhsa_next_free_vgpr 319
		.amdhsa_next_free_sgpr 28
		.amdhsa_accum_offset 256
		.amdhsa_reserve_vcc 1
		.amdhsa_float_round_mode_32 0
		.amdhsa_float_round_mode_16_64 0
		.amdhsa_float_denorm_mode_32 3
		.amdhsa_float_denorm_mode_16_64 3
		.amdhsa_dx10_clamp 1
		.amdhsa_ieee_mode 1
		.amdhsa_fp16_overflow 0
		.amdhsa_tg_split 0
		.amdhsa_exception_fp_ieee_invalid_op 0
		.amdhsa_exception_fp_denorm_src 0
		.amdhsa_exception_fp_ieee_div_zero 0
		.amdhsa_exception_fp_ieee_overflow 0
		.amdhsa_exception_fp_ieee_underflow 0
		.amdhsa_exception_fp_ieee_inexact 0
		.amdhsa_exception_int_div_zero 0
	.end_amdhsa_kernel
	.text
.Lfunc_end0:
	.size	bluestein_single_fwd_len756_dim1_dp_op_CI_CI, .Lfunc_end0-bluestein_single_fwd_len756_dim1_dp_op_CI_CI
                                        ; -- End function
	.section	.AMDGPU.csdata,"",@progbits
; Kernel info:
; codeLenInByte = 16176
; NumSgprs: 34
; NumVgprs: 256
; NumAgprs: 63
; TotalNumVgprs: 319
; ScratchSize: 0
; MemoryBound: 0
; FloatMode: 240
; IeeeMode: 1
; LDSByteSize: 12096 bytes/workgroup (compile time only)
; SGPRBlocks: 4
; VGPRBlocks: 39
; NumSGPRsForWavesPerEU: 34
; NumVGPRsForWavesPerEU: 319
; AccumOffset: 256
; Occupancy: 1
; WaveLimiterHint : 1
; COMPUTE_PGM_RSRC2:SCRATCH_EN: 0
; COMPUTE_PGM_RSRC2:USER_SGPR: 2
; COMPUTE_PGM_RSRC2:TRAP_HANDLER: 0
; COMPUTE_PGM_RSRC2:TGID_X_EN: 1
; COMPUTE_PGM_RSRC2:TGID_Y_EN: 0
; COMPUTE_PGM_RSRC2:TGID_Z_EN: 0
; COMPUTE_PGM_RSRC2:TIDIG_COMP_CNT: 0
; COMPUTE_PGM_RSRC3_GFX90A:ACCUM_OFFSET: 63
; COMPUTE_PGM_RSRC3_GFX90A:TG_SPLIT: 0
	.text
	.p2alignl 6, 3212836864
	.fill 256, 4, 3212836864
	.type	__hip_cuid_596cd5c9d5ff3e98,@object ; @__hip_cuid_596cd5c9d5ff3e98
	.section	.bss,"aw",@nobits
	.globl	__hip_cuid_596cd5c9d5ff3e98
__hip_cuid_596cd5c9d5ff3e98:
	.byte	0                               ; 0x0
	.size	__hip_cuid_596cd5c9d5ff3e98, 1

	.ident	"AMD clang version 19.0.0git (https://github.com/RadeonOpenCompute/llvm-project roc-6.4.0 25133 c7fe45cf4b819c5991fe208aaa96edf142730f1d)"
	.section	".note.GNU-stack","",@progbits
	.addrsig
	.addrsig_sym __hip_cuid_596cd5c9d5ff3e98
	.amdgpu_metadata
---
amdhsa.kernels:
  - .agpr_count:     63
    .args:
      - .actual_access:  read_only
        .address_space:  global
        .offset:         0
        .size:           8
        .value_kind:     global_buffer
      - .actual_access:  read_only
        .address_space:  global
        .offset:         8
        .size:           8
        .value_kind:     global_buffer
      - .actual_access:  read_only
        .address_space:  global
        .offset:         16
        .size:           8
        .value_kind:     global_buffer
      - .actual_access:  read_only
        .address_space:  global
        .offset:         24
        .size:           8
        .value_kind:     global_buffer
      - .actual_access:  read_only
        .address_space:  global
        .offset:         32
        .size:           8
        .value_kind:     global_buffer
      - .offset:         40
        .size:           8
        .value_kind:     by_value
      - .address_space:  global
        .offset:         48
        .size:           8
        .value_kind:     global_buffer
      - .address_space:  global
        .offset:         56
        .size:           8
        .value_kind:     global_buffer
      - .address_space:  global
        .offset:         64
        .size:           8
        .value_kind:     global_buffer
      - .address_space:  global
        .offset:         72
        .size:           8
        .value_kind:     global_buffer
      - .offset:         80
        .size:           4
        .value_kind:     by_value
      - .address_space:  global
        .offset:         88
        .size:           8
        .value_kind:     global_buffer
      - .address_space:  global
        .offset:         96
        .size:           8
        .value_kind:     global_buffer
    .group_segment_fixed_size: 12096
    .kernarg_segment_align: 8
    .kernarg_segment_size: 104
    .language:       OpenCL C
    .language_version:
      - 2
      - 0
    .max_flat_workgroup_size: 63
    .name:           bluestein_single_fwd_len756_dim1_dp_op_CI_CI
    .private_segment_fixed_size: 0
    .sgpr_count:     34
    .sgpr_spill_count: 0
    .symbol:         bluestein_single_fwd_len756_dim1_dp_op_CI_CI.kd
    .uniform_work_group_size: 1
    .uses_dynamic_stack: false
    .vgpr_count:     319
    .vgpr_spill_count: 0
    .wavefront_size: 64
amdhsa.target:   amdgcn-amd-amdhsa--gfx950
amdhsa.version:
  - 1
  - 2
...

	.end_amdgpu_metadata
